;; amdgpu-corpus repo=ROCm/aiter kind=harvested arch=n/a opt=n/a

/root/src/amdgpu-assembly/repos/ROCm__aiter/hsa/gfx950/fmoe/silu/fmoe_bf16_blockscaleFp8_g1u1_vs_silu_1tg_32x256.co:	file format elf64-amdgpu

Disassembly of section .text:

0000000000002e00 <_ZN5aiter47fmoe_bf16_blockscaleFp8_g1u1_vs_silu_1tg_32x256E>:
	s_and_b32 s1, s1, 0xffff                                   // 000000002E00: 8601FF01 0000FFFF
	s_load_dwordx2 s[8:9], s[0:1], 0x0                         // 000000002E08: C0060200 00000000
	s_load_dwordx2 s[20:21], s[0:1], 0x10                      // 000000002E10: C0060500 00000010
	s_load_dwordx2 s[24:25], s[0:1], 0x20                      // 000000002E18: C0060600 00000020
	s_load_dwordx2 s[50:51], s[0:1], 0x30                      // 000000002E20: C0060C80 00000030
	s_load_dwordx2 s[12:13], s[0:1], 0x40                      // 000000002E28: C0060300 00000040
	s_load_dwordx2 s[28:29], s[0:1], 0x50                      // 000000002E30: C0060700 00000050
	s_load_dwordx2 s[32:33], s[0:1], 0x60                      // 000000002E38: C0060800 00000060
	s_load_dwordx2 s[16:17], s[0:1], 0x70                      // 000000002E40: C0060400 00000070
	s_load_dwordx2 s[36:37], s[0:1], 0x80                      // 000000002E48: C0060900 00000080
	s_load_dwordx2 s[44:45], s[0:1], 0x90                      // 000000002E50: C0060B00 00000090
	s_load_dwordx2 s[40:41], s[0:1], 0xa0                      // 000000002E58: C0060A00 000000A0
	s_load_dwordx2 s[46:47], s[0:1], 0xb0                      // 000000002E60: C0060B80 000000B0
	s_load_dword s60, s[0:1], 0xc0                             // 000000002E68: C0020F00 000000C0
	s_load_dword s61, s[0:1], 0xd0                             // 000000002E70: C0020F40 000000D0
	s_load_dword s62, s[0:1], 0xe0                             // 000000002E78: C0020F80 000000E0
	s_load_dword s63, s[0:1], 0xf0                             // 000000002E80: C0020FC0 000000F0
	s_load_dword s64, s[0:1], 0x100                            // 000000002E88: C0021000 00000100
	s_load_dword s65, s[0:1], 0x110                            // 000000002E90: C0021040 00000110
	s_load_dword s66, s[0:1], 0x120                            // 000000002E98: C0021080 00000120
	s_load_dword s67, s[0:1], 0x130                            // 000000002EA0: C00210C0 00000130
	s_load_dword s68, s[0:1], 0x140                            // 000000002EA8: C0021100 00000140
	s_load_dword s69, s[0:1], 0x150                            // 000000002EB0: C0021140 00000150
	s_load_dword s70, s[0:1], 0x160                            // 000000002EB8: C0021180 00000160
	s_load_dword s71, s[0:1], 0x170                            // 000000002EC0: C00211C0 00000170
	s_load_dword s72, s[0:1], 0x180                            // 000000002EC8: C0021200 00000180
	v_lshrrev_b32_e32 v1, 10, v0                               // 000000002ED0: 2002008A
	v_lshrrev_b32_e32 v2, 10, v1                               // 000000002ED4: 2004028A
	v_and_b32_e32 v2, 0x3ff, v2                                // 000000002ED8: 260404FF 000003FF
	v_and_b32_e32 v1, 0x3ff, v1                                // 000000002EE0: 260202FF 000003FF
	v_and_b32_e32 v0, 0x3ff, v0                                // 000000002EE8: 260000FF 000003FF
	v_lshrrev_b32_e32 v3, 6, v0                                // 000000002EF0: 20060086
	v_and_b32_e32 v0, 63, v0                                   // 000000002EF4: 260000BF
	s_mov_b32 s2, s2                                           // 000000002EF8: BE820002
	s_mov_b32 s3, s3                                           // 000000002EFC: BE830003
	s_mov_b32 s4, s4                                           // 000000002F00: BE840004
	v_readfirstlane_b32 s7, v3                                 // 000000002F04: 7E0E0503
	s_waitcnt lgkmcnt(0)                                       // 000000002F08: BF8CC07F
	s_and_b32 s51, s51, 0xffff                                 // 000000002F0C: 8633FF33 0000FFFF
	s_load_dword s50, s[50:51], 0x0                            // 000000002F14: C0020C99 00000000
	s_and_b32 s45, s45, 0xffff                                 // 000000002F1C: 862DFF2D 0000FFFF
	s_and_b32 s47, s47, 0xffff                                 // 000000002F24: 862FFF2F 0000FFFF
	s_and_b32 s9, s9, 0xffff                                   // 000000002F2C: 8609FF09 0000FFFF
	s_mul_i32 s56, s62, s64                                    // 000000002F34: 9238403E
	s_mul_i32 s57, s62, 4                                      // 000000002F38: 9239843E
	s_mov_b32 s22, s56                                         // 000000002F3C: BE960038
	s_mov_b32 s26, -16                                         // 000000002F40: BE9A00D0
	s_mov_b32 s14, -16                                         // 000000002F44: BE8E00D0
	s_mov_b32 s42, -16                                         // 000000002F48: BEAA00D0
	s_mov_b32 s30, -16                                         // 000000002F4C: BE9E00D0
	s_mov_b32 s34, -16                                         // 000000002F50: BEA200D0
	s_mov_b32 s38, -16                                         // 000000002F54: BEA600D0
	s_mov_b32 s18, -16                                         // 000000002F58: BE9200D0
	s_mul_i32 s56, s62, s67                                    // 000000002F5C: 9238433E
	s_mov_b32 s10, s56                                         // 000000002F60: BE8A0038
	s_mov_b32 s23, 0x20000                                     // 000000002F64: BE9700FF 00020000
	s_mov_b32 s27, 0x20000                                     // 000000002F6C: BE9B00FF 00020000
	s_mov_b32 s15, 0x20000                                     // 000000002F74: BE8F00FF 00020000
	s_mov_b32 s43, 0x20000                                     // 000000002F7C: BEAB00FF 00020000
	s_mov_b32 s31, 0x20000                                     // 000000002F84: BE9F00FF 00020000
	s_mov_b32 s35, 0x20000                                     // 000000002F8C: BEA300FF 00020000
	s_mov_b32 s39, 0x20000                                     // 000000002F94: BEA700FF 00020000
	s_mov_b32 s19, 0x20000                                     // 000000002F9C: BE9300FF 00020000
	s_mov_b32 s11, 0x20000                                     // 000000002FA4: BE8B00FF 00020000
	s_and_b32 s21, s21, 0xffff                                 // 000000002FAC: 8615FF15 0000FFFF
	s_and_b32 s25, s25, 0xffff                                 // 000000002FB4: 8619FF19 0000FFFF
	s_and_b32 s13, s13, 0xffff                                 // 000000002FBC: 860DFF0D 0000FFFF
	s_and_b32 s41, s41, 0xffff                                 // 000000002FC4: 8629FF29 0000FFFF
	s_and_b32 s29, s29, 0xffff                                 // 000000002FCC: 861DFF1D 0000FFFF
	s_and_b32 s33, s33, 0xffff                                 // 000000002FD4: 8621FF21 0000FFFF
	s_and_b32 s37, s37, 0xffff                                 // 000000002FDC: 8625FF25 0000FFFF
	s_and_b32 s17, s17, 0xffff                                 // 000000002FE4: 8611FF11 0000FFFF
	s_or_b32 s21, s21, 0x40000                                 // 000000002FEC: 8715FF15 00040000
	s_or_b32 s25, s25, 0x40000                                 // 000000002FF4: 8719FF19 00040000
	s_or_b32 s13, s13, 0x40000                                 // 000000002FFC: 870DFF0D 00040000
	s_or_b32 s41, s41, 0x40000                                 // 000000003004: 8729FF29 00040000
	s_or_b32 s29, s29, 0x40000                                 // 00000000300C: 871DFF1D 00040000
	s_or_b32 s33, s33, 0x40000                                 // 000000003014: 8721FF21 00040000
	s_or_b32 s37, s37, 0x40000                                 // 00000000301C: 8725FF25 00040000
	s_or_b32 s17, s17, 0x40000                                 // 000000003024: 8711FF11 00040000
	v_accvgpr_write_b32 a191, 0                                // 00000000302C: D3D940BF 18000080
	v_mov_b32_e32 v223, 0                                      // 000000003034: 7FBE0280
	s_waitcnt lgkmcnt(0)                                       // 000000003038: BF8CC07F
	s_mul_i32 s56, s3, 32                                      // 00000000303C: 9238A003
	s_cmp_lt_i32 s56, s50                                      // 000000003040: BF043238
	s_cbranch_scc0 label_156F                                  // 000000003044: BF8414DD
	s_mov_b32 s76, 0                                           // 000000003048: BECC0080
	s_mov_b32 s77, s60                                         // 00000000304C: BECD003C
	s_mul_i32 s56, s3, 4                                       // 000000003050: 92388403
	s_add_u32 s46, s56, s46                                    // 000000003054: 802E2E38
	s_addc_u32 s47, 0, s47                                     // 000000003058: 822F2F80
	s_load_dword s5, s[46:47], 0x0                             // 00000000305C: C0020157 00000000
	s_mul_i32 s56, s3, 32                                      // 000000003064: 9238A003
	s_mul_i32 s56, 4, s56                                      // 000000003068: 92383884
	v_and_b32_e32 v52, 15, v0                                  // 00000000306C: 2668008F
	v_lshlrev_b32_e32 v52, 2, v52                              // 000000003070: 24686882
	v_add_u32_e32 v52, s56, v52                                // 000000003074: 68686838
	v_mov_b32_e32 v53, 0                                       // 000000003078: 7E6A0280
	global_load_dword v9, v52, s[44:45]                        // 00000000307C: DC508000 092C0034
	v_add_u32_e32 v52, 64, v52                                 // 000000003084: 686868C0
	global_load_dword v10, v52, s[44:45]                       // 000000003088: DC508000 0A2C0034
	s_mul_i32 s56, s3, 32                                      // 000000003090: 9238A003
	s_lshr_b32 s57, s7, 1                                      // 000000003094: 8F398107
	s_mul_i32 s57, s57, 8                                      // 000000003098: 92398839
	s_add_u32 s56, s57, s56                                    // 00000000309C: 80383839
	s_and_b32 s57, s7, 1                                       // 0000000030A0: 86398107
	s_mul_i32 s57, s57, 2                                      // 0000000030A4: 92398239
	s_add_u32 s56, s57, s56                                    // 0000000030A8: 80383839
	s_mul_i32 s56, 4, s56                                      // 0000000030AC: 92383884
	s_add_u32 s44, s56, s44                                    // 0000000030B0: 802C2C38
	s_addc_u32 s45, 0, s45                                     // 0000000030B4: 822D2D80
	s_load_dword s78, s[44:45], 0x0                            // 0000000030B8: C0021396 00000000
	s_load_dword s79, s[44:45], 0x4                            // 0000000030C0: C00213D6 00000004
	s_load_dword s80, s[44:45], 0x10                           // 0000000030C8: C0021416 00000010
	s_load_dword s81, s[44:45], 0x14                           // 0000000030D0: C0021456 00000014
	s_load_dword s82, s[44:45], 0x40                           // 0000000030D8: C0021496 00000040
	s_load_dword s83, s[44:45], 0x44                           // 0000000030E0: C00214D6 00000044
	s_load_dword s84, s[44:45], 0x50                           // 0000000030E8: C0021516 00000050
	s_load_dword s85, s[44:45], 0x54                           // 0000000030F0: C0021556 00000054
	s_waitcnt lgkmcnt(0)                                       // 0000000030F8: BF8CC07F
	s_and_b32 s78, s78, 0xffffff                               // 0000000030FC: 864EFF4E 00FFFFFF
	s_mul_i32 s58, s78, s64                                    // 000000003104: 923A404E
	s_lshl_b32 s56, 0xff, 0                                    // 000000003108: 8E3880FF 000000FF
	s_mov_b32 s57, 0                                           // 000000003110: BEB90080
	s_mov_b64 exec, s[56:57]                                   // 000000003114: BEFE0138
	v_mov_b32_e32 v35, s58                                     // 000000003118: 7E46023A
	s_and_b32 s79, s79, 0xffffff                               // 00000000311C: 864FFF4F 00FFFFFF
	s_mul_i32 s58, s79, s64                                    // 000000003124: 923A404F
	s_lshl_b32 s56, 0xff, 8                                    // 000000003128: 8E3888FF 000000FF
	s_mov_b64 exec, s[56:57]                                   // 000000003130: BEFE0138
	v_mov_b32_e32 v35, s58                                     // 000000003134: 7E46023A
	s_and_b32 s80, s80, 0xffffff                               // 000000003138: 8650FF50 00FFFFFF
	s_mul_i32 s58, s80, s64                                    // 000000003140: 923A4050
	s_lshl_b32 s56, 0xff, 16                                   // 000000003144: 8E3890FF 000000FF
	s_mov_b64 exec, s[56:57]                                   // 00000000314C: BEFE0138
	v_mov_b32_e32 v35, s58                                     // 000000003150: 7E46023A
	s_and_b32 s81, s81, 0xffffff                               // 000000003154: 8651FF51 00FFFFFF
	s_mul_i32 s58, s81, s64                                    // 00000000315C: 923A4051
	s_lshl_b32 s56, 0xff, 24                                   // 000000003160: 8E3898FF 000000FF
	s_mov_b64 exec, s[56:57]                                   // 000000003168: BEFE0138
	v_mov_b32_e32 v35, s58                                     // 00000000316C: 7E46023A
	s_and_b32 s82, s82, 0xffffff                               // 000000003170: 8652FF52 00FFFFFF
	s_mul_i32 s58, s82, s64                                    // 000000003178: 923A4052
	s_lshl_b32 s57, 0xff, 0                                    // 00000000317C: 8E3980FF 000000FF
	s_mov_b32 s56, 0                                           // 000000003184: BEB80080
	s_mov_b64 exec, s[56:57]                                   // 000000003188: BEFE0138
	v_mov_b32_e32 v35, s58                                     // 00000000318C: 7E46023A
	s_and_b32 s83, s83, 0xffffff                               // 000000003190: 8653FF53 00FFFFFF
	s_mul_i32 s58, s83, s64                                    // 000000003198: 923A4053
	s_lshl_b32 s57, 0xff, 8                                    // 00000000319C: 8E3988FF 000000FF
	s_mov_b64 exec, s[56:57]                                   // 0000000031A4: BEFE0138
	v_mov_b32_e32 v35, s58                                     // 0000000031A8: 7E46023A
	s_and_b32 s84, s84, 0xffffff                               // 0000000031AC: 8654FF54 00FFFFFF
	s_mul_i32 s58, s84, s64                                    // 0000000031B4: 923A4054
	s_lshl_b32 s57, 0xff, 16                                   // 0000000031B8: 8E3990FF 000000FF
	s_mov_b64 exec, s[56:57]                                   // 0000000031C0: BEFE0138
	v_mov_b32_e32 v35, s58                                     // 0000000031C4: 7E46023A
	s_and_b32 s85, s85, 0xffffff                               // 0000000031C8: 8655FF55 00FFFFFF
	s_mul_i32 s58, s85, s64                                    // 0000000031D0: 923A4055
	s_lshl_b32 s57, 0xff, 24                                   // 0000000031D4: 8E3998FF 000000FF
	s_mov_b64 exec, s[56:57]                                   // 0000000031DC: BEFE0138
	v_mov_b32_e32 v35, s58                                     // 0000000031E0: 7E46023A
	s_mov_b32 s56, -1                                          // 0000000031E4: BEB800C1
	s_mov_b32 s57, -1                                          // 0000000031E8: BEB900C1
	s_mov_b64 exec, s[56:57]                                   // 0000000031EC: BEFE0138
	v_and_b32_e64 v52, v0, 7                                   // 0000000031F0: D1130034 00010F00
	v_lshlrev_b32_e32 v52, 4, v52                              // 0000000031F8: 24686884
	s_mov_b32 s58, 0x80                                        // 0000000031FC: BEBA00FF 00000080
	v_add_u32_e32 v35, v35, v52                                // 000000003204: 68466923
	v_add_u32_e64 v36, v35, s58                                // 000000003208: D1340024 00007523
	v_add_u32_e32 v37, v37, v52                                // 000000003210: 684A6925
	v_add_u32_e64 v38, v37, s58                                // 000000003214: D1340026 00007525
	v_add_u32_e32 v39, v39, v52                                // 00000000321C: 684E6927
	v_add_u32_e64 v40, v39, s58                                // 000000003220: D1340028 00007527
	v_add_u32_e32 v41, v41, v52                                // 000000003228: 68526929
	v_add_u32_e64 v42, v41, s58                                // 00000000322C: D134002A 00007529
	v_add_u32_e32 v43, v43, v52                                // 000000003234: 6856692B
	v_add_u32_e64 v44, v43, s58                                // 000000003238: D134002C 0000752B
	v_add_u32_e32 v45, v45, v52                                // 000000003240: 685A692D
	v_add_u32_e64 v46, v45, s58                                // 000000003244: D134002E 0000752D
	v_add_u32_e32 v47, v47, v52                                // 00000000324C: 685E692F
	v_add_u32_e64 v48, v47, s58                                // 000000003250: D1340030 0000752F
	v_add_u32_e32 v49, v49, v52                                // 000000003258: 68626931
	v_add_u32_e64 v50, v49, s58                                // 00000000325C: D1340032 00007531
	v_add_u32_e32 v51, v51, v52                                // 000000003264: 68666933
	v_add_u32_e64 v52, v51, s58                                // 000000003268: D1340034 00007533
	v_add_u32_e32 v53, v53, v52                                // 000000003270: 686A6935
	v_add_u32_e64 v54, v53, s58                                // 000000003274: D1340036 00007535
	v_add_u32_e32 v55, v55, v52                                // 00000000327C: 686E6937
	v_add_u32_e64 v56, v55, s58                                // 000000003280: D1340038 00007537
	v_add_u32_e32 v57, v57, v52                                // 000000003288: 68726939
	v_add_u32_e64 v58, v57, s58                                // 00000000328C: D134003A 00007539
	v_add_u32_e32 v59, v59, v52                                // 000000003294: 6876693B
	v_add_u32_e64 v60, v59, s58                                // 000000003298: D134003C 0000753B
	v_add_u32_e32 v61, v61, v52                                // 0000000032A0: 687A693D
	v_add_u32_e64 v62, v61, s58                                // 0000000032A4: D134003E 0000753D
	v_add_u32_e32 v63, v63, v52                                // 0000000032AC: 687E693F
	v_add_u32_e64 v64, v63, s58                                // 0000000032B0: D1340040 0000753F
	v_add_u32_e32 v65, v65, v52                                // 0000000032B8: 68826941
	v_add_u32_e64 v66, v65, s58                                // 0000000032BC: D1340042 00007541
	v_lshlrev_b32_e32 v52, 2, v0                               // 0000000032C4: 24680082
	s_mul_i32 s56, s78, s67                                    // 0000000032C8: 9238434E
	v_add_u32_e64 v80, v52, s56                                // 0000000032CC: D1340050 00007134
	v_mov_b32_e32 v81, 0                                       // 0000000032D4: 7EA20280
	s_mul_i32 s56, s79, s67                                    // 0000000032D8: 9238434F
	v_add_u32_e64 v82, v52, s56                                // 0000000032DC: D1340052 00007134
	v_mov_b32_e32 v83, 0                                       // 0000000032E4: 7EA60280
	s_mul_i32 s56, s80, s67                                    // 0000000032E8: 92384350
	v_add_u32_e64 v84, v52, s56                                // 0000000032EC: D1340054 00007134
	v_mov_b32_e32 v85, 0                                       // 0000000032F4: 7EAA0280
	s_mul_i32 s56, s81, s67                                    // 0000000032F8: 92384351
	v_add_u32_e64 v86, v52, s56                                // 0000000032FC: D1340056 00007134
	v_mov_b32_e32 v87, 0                                       // 000000003304: 7EAE0280
	s_mul_i32 s56, s82, s67                                    // 000000003308: 92384352
	v_add_u32_e64 v88, v52, s56                                // 00000000330C: D1340058 00007134
	v_mov_b32_e32 v89, 0                                       // 000000003314: 7EB20280
	s_mul_i32 s56, s83, s67                                    // 000000003318: 92384353
	v_add_u32_e64 v90, v52, s56                                // 00000000331C: D134005A 00007134
	v_mov_b32_e32 v91, 0                                       // 000000003324: 7EB60280
	s_mul_i32 s56, s84, s67                                    // 000000003328: 92384354
	v_add_u32_e64 v92, v52, s56                                // 00000000332C: D134005C 00007134
	v_mov_b32_e32 v93, 0                                       // 000000003334: 7EBA0280
	s_mul_i32 s56, s85, s67                                    // 000000003338: 92384355
	v_add_u32_e64 v94, v52, s56                                // 00000000333C: D134005E 00007134
	v_mov_b32_e32 v95, 0                                       // 000000003344: 7EBE0280
	s_mul_i32 s56, s7, 0x420                                   // 000000003348: 9238FF07 00000420
	s_add_u32 s48, 0, s56                                      // 000000003350: 80303880
	s_add_u32 s49, 0x2500, s48                                 // 000000003354: 803130FF 00002500
	s_add_u32 s50, 0, s56                                      // 00000000335C: 80323880
	s_add_u32 s51, 0x2500, s50                                 // 000000003360: 803332FF 00002500
	v_and_b32_e32 v52, 15, v0                                  // 000000003368: 2668008F
	v_lshrrev_b32_e32 v53, 3, v52                              // 00000000336C: 206A6883
	v_mul_lo_u32 v53, 2, v53                                   // 000000003370: D2850035 00026A82
	v_and_b32_e32 v52, 3, v0                                   // 000000003378: 26680083
	v_lshrrev_b32_e32 v54, 1, v52                              // 00000000337C: 206C6881
	v_add_u32_e32 v52, v53, v54                                // 000000003380: 68686D35
	v_mul_i32_i24_e32 v2, 0x420, v52                           // 000000003384: 0C0468FF 00000420
	v_and_b32_e32 v52, 7, v0                                   // 00000000338C: 26680087
	v_lshrrev_b32_e32 v53, 2, v52                              // 000000003390: 206A6882
	v_mul_i32_i24_e32 v53, 0x100, v53                          // 000000003394: 0C6A6AFF 00000100
	v_and_b32_e32 v52, 1, v0                                   // 00000000339C: 26680081
	v_mul_i32_i24_e32 v54, 0x80, v52                           // 0000000033A0: 0C6C68FF 00000080
	v_add_u32_e32 v2, v53, v2                                  // 0000000033A8: 68040535
	v_add_u32_e32 v2, v54, v2                                  // 0000000033AC: 68040536
	v_lshrrev_b32_e32 v52, 4, v0                               // 0000000033B0: 20680084
	v_mul_lo_u32 v52, 16, v52                                  // 0000000033B4: D2850034 00026890
	v_add_u32_e32 v2, v52, v2                                  // 0000000033BC: 68040534
	s_mul_i32 s56, s2, 0x100                                   // 0000000033C0: 9238FF02 00000100
	s_mul_i32 s56, s56, s65                                    // 0000000033C8: 92384138
	s_mul_i32 s57, s5, s68                                     // 0000000033CC: 92394405
	s_add_u32 s56, s57, s56                                    // 0000000033D0: 80383839
	s_add_u32 s24, s56, s24                                    // 0000000033D4: 80181838
	s_addc_u32 s25, 0, s25                                     // 0000000033D8: 82191980
	s_mul_i32 s56, s7, 16                                      // 0000000033DC: 92389007
	s_mul_i32 s56, s56, s65                                    // 0000000033E0: 92384138
	v_lshlrev_b32_e32 v39, 4, v0                               // 0000000033E4: 244E0084
	v_add_u32_e32 v39, s56, v39                                // 0000000033E8: 684E4E38
	s_mul_i32 s56, 64, s65                                     // 0000000033EC: 923841C0
	v_add_u32_e32 v40, s56, v39                                // 0000000033F0: 68504E38
	v_add_u32_e32 v41, s56, v40                                // 0000000033F4: 68525038
	v_add_u32_e32 v42, s56, v41                                // 0000000033F8: 68545238
	s_mov_b32 s96, s24                                         // 0000000033FC: BEE00018
	s_mov_b32 s97, s25                                         // 000000003400: BEE10019
	s_mov_b32 s98, s26                                         // 000000003404: BEE2001A
	s_mov_b32 s99, s27                                         // 000000003408: BEE3001B
	s_mul_i32 s56, s65, s61                                    // 00000000340C: 92383D41
	s_add_u32 s96, s56, s96                                    // 000000003410: 80606038
	s_addc_u32 s97, 0, s97                                     // 000000003414: 82616180
	s_mul_i32 s56, s2, 0x1000                                  // 000000003418: 9238FF02 00001000
	s_mul_i32 s57, s5, s69                                     // 000000003420: 92394505
	s_add_u32 s56, s57, s56                                    // 000000003424: 80383839
	s_add_u32 s12, s56, s12                                    // 000000003428: 800C0C38
	s_addc_u32 s13, 0, s13                                     // 00000000342C: 820D0D80
	s_mul_i32 s56, s7, 16                                      // 000000003430: 92389007
	s_mul_i32 s56, s56, s66                                    // 000000003434: 92384238
	v_lshlrev_b32_e32 v43, 4, v0                               // 000000003438: 24560084
	v_add_u32_e32 v43, s56, v43                                // 00000000343C: 68565638
	s_mul_i32 s56, 64, s66                                     // 000000003440: 923842C0
	v_add_u32_e32 v44, s56, v43                                // 000000003444: 68585638
	v_add_u32_e32 v45, s56, v44                                // 000000003448: 685A5838
	v_add_u32_e32 v46, s56, v45                                // 00000000344C: 685C5A38
	s_mul_i32 s56, s66, 0x100                                  // 000000003450: 9238FF42 00000100
	s_mov_b32 s74, 0x800                                       // 000000003458: BECA00FF 00000800
	s_mul_i32 s57, s74, 1                                      // 000000003460: 9239814A
	s_sub_u32 s52, s56, s57                                    // 000000003464: 80B43938
	s_mul_i32 s56, s3, 32                                      // 000000003468: 9238A003
	s_mul_i32 s56, 4, s56                                      // 00000000346C: 92383884
	s_add_u32 s40, s56, s40                                    // 000000003470: 80282838
	s_addc_u32 s41, 0, s41                                     // 000000003474: 82292980
	v_and_b32_e32 v52, 15, v0                                  // 000000003478: 2668008F
	v_lshlrev_b32_e32 v13, 2, v52                              // 00000000347C: 241A6882
	v_add_u32_e32 v14, 64, v13                                 // 000000003480: 681C1AC0
	v_add_u32_e32 v15, 64, v14                                 // 000000003484: 681E1CC0
	v_add_u32_e32 v16, 64, v15                                 // 000000003488: 68201EC0
	s_lshr_b32 s56, s60, 7                                     // 00000000348C: 8F38873C
	s_mul_i32 s57, s56, 4                                      // 000000003490: 92398438
	v_and_b32_e64 v17, v0, 1                                   // 000000003494: D1130011 00010300
	v_mul_lo_u32 v17, v17, s57                                 // 00000000349C: D2850011 00007311
	v_and_b32_e64 v52, v0, 3                                   // 0000000034A4: D1130034 00010700
	v_lshrrev_b32_e32 v52, 1, v52                              // 0000000034AC: 20686881
	v_mul_lo_u32 v52, 4, v52                                   // 0000000034B0: D2850034 00026884
	v_add_u32_e32 v17, v17, v52                                // 0000000034B8: 68226911
	s_lshr_b32 s56, s61, 7                                     // 0000000034BC: 8F38873D
	s_mul_i32 s56, s56, s57                                    // 0000000034C0: 92383938
	v_add_u32_e64 v19, v17, s56                                // 0000000034C4: D1340013 00007111
	s_mov_b32 s4, 8                                            // 0000000034CC: BE840088
	s_mul_i32 s56, s2, 2                                       // 0000000034D0: 92388202
	s_mul_i32 s56, s56, s57                                    // 0000000034D4: 92383938
	s_mul_i32 s57, s5, s70                                     // 0000000034D8: 92394605
	s_add_u32 s57, s57, s56                                    // 0000000034DC: 80393839
	s_add_u32 s32, s57, s32                                    // 0000000034E0: 80202039
	s_addc_u32 s33, 0, s33                                     // 0000000034E4: 82212180
	s_lshr_b32 s56, s61, 7                                     // 0000000034E8: 8F38873D
	s_mul_i32 s57, s56, 4                                      // 0000000034EC: 92398438
	s_mul_i32 s56, s2, 2                                       // 0000000034F0: 92388202
	s_mul_i32 s56, s56, 4                                      // 0000000034F4: 92388438
	v_and_b32_e64 v8, v0, 1                                    // 0000000034F8: D1130008 00010300
	v_mul_lo_u32 v8, v8, s57                                   // 000000003500: D2850008 00007308
	v_and_b32_e64 v52, v0, 3                                   // 000000003508: D1130034 00010700
	v_lshrrev_b32_e32 v52, 1, v52                              // 000000003510: 20686881
	v_mul_lo_u32 v52, 4, v52                                   // 000000003514: D2850034 00026884
	v_add_i32 v8, v8, v52                                      // 00000000351C: D29C0008 00026908
	v_add_i32 v8, v8, s56                                      // 000000003524: D29C0008 00007108
	s_mul_i32 s56, s5, s71                                     // 00000000352C: 92384705
	s_add_u32 s16, s56, s16                                    // 000000003530: 80101038
	s_addc_u32 s17, 0, s17                                     // 000000003534: 82111180
	s_mov_b32 s53, 0x100                                       // 000000003538: BEB500FF 00000100
	s_mov_b32 s54, 0x1000                                      // 000000003540: BEB600FF 00001000
	s_mul_i32 s75, 2, s57                                      // 000000003548: 924B3982
	s_mov_b32 s55, 0                                           // 00000000354C: BEB70080
	s_mov_b32 s94, s54                                         // 000000003550: BEDE0036
	s_mov_b32 s6, 0x3fb8aa3b                                   // 000000003554: BE8600FF 3FB8AA3B
	s_mov_b32 m0, s48                                          // 00000000355C: BEFC0030
	v_mov_b32_e32 v1, 0xbfcc4231                               // 000000003560: 7E0202FF BFCC4231
	v_mov_b32_e32 v48, 0xffff0000                              // 000000003568: 7E6002FF FFFF0000
	v_mov_b32_e32 v49, 0x7fff0000                              // 000000003570: 7E6202FF 7FFF0000
	v_mov_b32_e32 v50, 0x7fff                                  // 000000003578: 7E6402FF 00007FFF
	s_waitcnt vmcnt(0) expcnt(0) lgkmcnt(0)                    // 000000003580: BF8C0000
	v_and_b32_e32 v9, 0xffffff, v9                             // 000000003584: 261212FF 00FFFFFF
	v_lshlrev_b32_e32 v9, 2, v9                                // 00000000358C: 24121282
	v_and_b32_e32 v10, 0xffffff, v10                           // 000000003590: 261414FF 00FFFFFF
	v_lshlrev_b32_e32 v10, 2, v10                              // 000000003598: 24141482
	s_lshr_b32 s56, s7, 1                                      // 00000000359C: 8F388107
	s_lshl_b32 s3, s62, 2                                      // 0000000035A0: 8E03823E
	s_mul_i32 s56, s56, s3                                     // 0000000035A4: 92380338
	s_add_u32 s28, s28, s56                                    // 0000000035A8: 801C381C
	s_addc_u32 s29, 0, s29                                     // 0000000035AC: 821D1D80
	s_mov_b32 s30, s3                                          // 0000000035B0: BE9E0003
	s_lshl_b32 s3, s3, 1                                       // 0000000035B4: 8E038103
	s_and_b32 s57, s7, 1                                       // 0000000035B8: 86398107
	s_cmp_eq_u32 s57, 1                                        // 0000000035BC: BF068139
	s_cselect_b32 s56, 0, 1                                    // 0000000035C0: 85388180
	v_mul_lo_u32 v52, v9, s56                                  // 0000000035C4: D2850034 00007109
	v_mul_lo_u32 v53, v10, s57                                 // 0000000035CC: D2850035 0000730A
	v_add_u32_e32 v52, v52, v53                                // 0000000035D4: 68686B34
	v_mov_b32_e32 v9, v52                                      // 0000000035D8: 7E120334
	s_mul_i32 s56, s7, 0x100                                   // 0000000035DC: 9238FF07 00000100
	s_sub_u32 s57, 4, s7                                       // 0000000035E4: 80B90784
	s_mul_i32 s57, s57, 0x420                                  // 0000000035E8: 9239FF39 00000420
	s_add_u32 s72, s56, s57                                    // 0000000035F0: 80483938
	v_lshlrev_b32_e32 v3, 2, v0                                // 0000000035F4: 24060082
	buffer_load_dword v29, v17, s[32:35], 0 offen              // 0000000035F8: E0501000 80081D11
	buffer_load_dword v31, v13, s[40:43], 0 offen              // 000000003600: E0501000 800A1F0D
	buffer_load_dword v32, v14, s[40:43], 0 offen              // 000000003608: E0501000 800A200E
	buffer_load_dwordx4 v35, s[20:23], 0 offen lds             // 000000003610: E05D1000 80050023
	s_add_u32 m0, 0x1080, s48                                  // 000000003618: 807C30FF 00001080
	buffer_load_dwordx4 v36, s[20:23], 0 offen lds             // 000000003620: E05D1000 80050024
	s_add_u32 m0, m0, s72                                      // 000000003628: 807C487C
	buffer_load_dword v9, s[28:31], 0 offen lds                // 00000000362C: E0511000 80070009
	s_add_u32 m0, 0, s49                                       // 000000003634: 807C3180
	s_add_u32 s20, s53, s20                                    // 000000003638: 80141435
	s_addc_u32 s21, 0, s21                                     // 00000000363C: 82151580
	s_add_u32 s28, s3, s28                                     // 000000003640: 801C1C03
	s_addc_u32 s29, 0, s29                                     // 000000003644: 821D1D80
	buffer_load_dwordx4 a[0:3], v39, s[24:27], 0 offen         // 000000003648: E05C1000 80860027
	buffer_load_dwordx4 a[4:7], v39, s[24:27], 0 offen offset:1024// 000000003650: E05C1400 80860427
	buffer_load_dwordx4 a[8:11], v40, s[24:27], 0 offen        // 000000003658: E05C1000 80860828
	buffer_load_dwordx4 a[12:15], v40, s[24:27], 0 offen offset:1024// 000000003660: E05C1400 80860C28
	buffer_load_dwordx4 a[16:19], v41, s[24:27], 0 offen       // 000000003668: E05C1000 80861029
	buffer_load_dwordx4 a[20:23], v41, s[24:27], 0 offen offset:1024// 000000003670: E05C1400 80861429
	buffer_load_dwordx4 a[24:27], v42, s[24:27], 0 offen       // 000000003678: E05C1000 8086182A
	buffer_load_dwordx4 a[28:31], v42, s[24:27], 0 offen offset:1024// 000000003680: E05C1400 80861C2A
	buffer_load_dwordx4 a[32:35], v39, s[24:27], 0 offen offset:2048// 000000003688: E05C1800 80862027
	buffer_load_dwordx4 a[36:39], v39, s[24:27], 0 offen offset:3072// 000000003690: E05C1C00 80862427
	buffer_load_dwordx4 a[40:43], v40, s[24:27], 0 offen offset:2048// 000000003698: E05C1800 80862828
	buffer_load_dwordx4 a[44:47], v40, s[24:27], 0 offen offset:3072// 0000000036A0: E05C1C00 80862C28
	buffer_load_dwordx4 a[48:51], v41, s[24:27], 0 offen offset:2048// 0000000036A8: E05C1800 80863029
	buffer_load_dwordx4 a[52:55], v41, s[24:27], 0 offen offset:3072// 0000000036B0: E05C1C00 80863429
	buffer_load_dwordx4 a[56:59], v42, s[24:27], 0 offen offset:2048// 0000000036B8: E05C1800 8086382A
	buffer_load_dwordx4 a[60:63], v42, s[24:27], 0 offen offset:3072// 0000000036C0: E05C1C00 80863C2A
	s_add_u32 s24, s54, s24                                    // 0000000036C8: 80181836
	s_addc_u32 s25, 0, s25                                     // 0000000036CC: 82191980
	v_mov_b32_e32 v64, 0                                       // 0000000036D0: 7E800280
	v_mov_b32_e32 v96, 0                                       // 0000000036D4: 7EC00280
	v_mov_b32_e32 v65, 0                                       // 0000000036D8: 7E820280
	v_mov_b32_e32 v97, 0                                       // 0000000036DC: 7EC20280
	v_mov_b32_e32 v66, 0                                       // 0000000036E0: 7E840280
	v_mov_b32_e32 v98, 0                                       // 0000000036E4: 7EC40280
	v_mov_b32_e32 v67, 0                                       // 0000000036E8: 7E860280
	v_mov_b32_e32 v99, 0                                       // 0000000036EC: 7EC60280
	v_mov_b32_e32 v68, 0                                       // 0000000036F0: 7E880280
	v_mov_b32_e32 v100, 0                                      // 0000000036F4: 7EC80280
	v_mov_b32_e32 v69, 0                                       // 0000000036F8: 7E8A0280
	v_mov_b32_e32 v101, 0                                      // 0000000036FC: 7ECA0280
	v_mov_b32_e32 v70, 0                                       // 000000003700: 7E8C0280
	v_mov_b32_e32 v102, 0                                      // 000000003704: 7ECC0280
	v_mov_b32_e32 v71, 0                                       // 000000003708: 7E8E0280
	v_mov_b32_e32 v103, 0                                      // 00000000370C: 7ECE0280
	v_mov_b32_e32 v72, 0                                       // 000000003710: 7E900280
	v_mov_b32_e32 v104, 0                                      // 000000003714: 7ED00280
	v_mov_b32_e32 v73, 0                                       // 000000003718: 7E920280
	v_mov_b32_e32 v105, 0                                      // 00000000371C: 7ED20280
	v_mov_b32_e32 v74, 0                                       // 000000003720: 7E940280
	v_mov_b32_e32 v106, 0                                      // 000000003724: 7ED40280
	v_mov_b32_e32 v75, 0                                       // 000000003728: 7E960280
	v_mov_b32_e32 v107, 0                                      // 00000000372C: 7ED60280
	v_mov_b32_e32 v76, 0                                       // 000000003730: 7E980280
	v_mov_b32_e32 v108, 0                                      // 000000003734: 7ED80280
	v_mov_b32_e32 v77, 0                                       // 000000003738: 7E9A0280
	v_mov_b32_e32 v109, 0                                      // 00000000373C: 7EDA0280
	v_mov_b32_e32 v78, 0                                       // 000000003740: 7E9C0280
	v_mov_b32_e32 v110, 0                                      // 000000003744: 7EDC0280
	v_mov_b32_e32 v79, 0                                       // 000000003748: 7E9E0280
	v_mov_b32_e32 v111, 0                                      // 00000000374C: 7EDE0280
	v_mov_b32_e32 v80, 0                                       // 000000003750: 7EA00280
	v_mov_b32_e32 v112, 0                                      // 000000003754: 7EE00280
	v_mov_b32_e32 v81, 0                                       // 000000003758: 7EA20280
	v_mov_b32_e32 v113, 0                                      // 00000000375C: 7EE20280
	v_mov_b32_e32 v82, 0                                       // 000000003760: 7EA40280
	v_mov_b32_e32 v114, 0                                      // 000000003764: 7EE40280
	v_mov_b32_e32 v83, 0                                       // 000000003768: 7EA60280
	v_mov_b32_e32 v115, 0                                      // 00000000376C: 7EE60280
	v_mov_b32_e32 v84, 0                                       // 000000003770: 7EA80280
	v_mov_b32_e32 v116, 0                                      // 000000003774: 7EE80280
	v_mov_b32_e32 v85, 0                                       // 000000003778: 7EAA0280
	v_mov_b32_e32 v117, 0                                      // 00000000377C: 7EEA0280
	v_mov_b32_e32 v86, 0                                       // 000000003780: 7EAC0280
	v_mov_b32_e32 v118, 0                                      // 000000003784: 7EEC0280
	v_mov_b32_e32 v87, 0                                       // 000000003788: 7EAE0280
	v_mov_b32_e32 v119, 0                                      // 00000000378C: 7EEE0280
	v_mov_b32_e32 v88, 0                                       // 000000003790: 7EB00280
	v_mov_b32_e32 v120, 0                                      // 000000003794: 7EF00280
	v_mov_b32_e32 v89, 0                                       // 000000003798: 7EB20280
	v_mov_b32_e32 v121, 0                                      // 00000000379C: 7EF20280
	v_mov_b32_e32 v90, 0                                       // 0000000037A0: 7EB40280
	v_mov_b32_e32 v122, 0                                      // 0000000037A4: 7EF40280
	v_mov_b32_e32 v91, 0                                       // 0000000037A8: 7EB60280
	v_mov_b32_e32 v123, 0                                      // 0000000037AC: 7EF60280
	v_mov_b32_e32 v92, 0                                       // 0000000037B0: 7EB80280
	v_mov_b32_e32 v124, 0                                      // 0000000037B4: 7EF80280
	v_mov_b32_e32 v93, 0                                       // 0000000037B8: 7EBA0280
	v_mov_b32_e32 v125, 0                                      // 0000000037BC: 7EFA0280
	v_mov_b32_e32 v94, 0                                       // 0000000037C0: 7EBC0280
	v_mov_b32_e32 v126, 0                                      // 0000000037C4: 7EFC0280
	v_mov_b32_e32 v95, 0                                       // 0000000037C8: 7EBE0280
	v_mov_b32_e32 v127, 0                                      // 0000000037CC: 7EFE0280
	v_mov_b32_e32 v96, 0                                       // 0000000037D0: 7EC00280
	v_mov_b32_e32 v128, 0                                      // 0000000037D4: 7F000280
	v_mov_b32_e32 v97, 0                                       // 0000000037D8: 7EC20280
	v_mov_b32_e32 v129, 0                                      // 0000000037DC: 7F020280
	v_mov_b32_e32 v98, 0                                       // 0000000037E0: 7EC40280
	v_mov_b32_e32 v130, 0                                      // 0000000037E4: 7F040280
	v_mov_b32_e32 v99, 0                                       // 0000000037E8: 7EC60280
	v_mov_b32_e32 v131, 0                                      // 0000000037EC: 7F060280
	v_mov_b32_e32 v100, 0                                      // 0000000037F0: 7EC80280
	v_mov_b32_e32 v132, 0                                      // 0000000037F4: 7F080280
	v_mov_b32_e32 v101, 0                                      // 0000000037F8: 7ECA0280
	v_mov_b32_e32 v133, 0                                      // 0000000037FC: 7F0A0280
	v_mov_b32_e32 v102, 0                                      // 000000003800: 7ECC0280
	v_mov_b32_e32 v134, 0                                      // 000000003804: 7F0C0280
	v_mov_b32_e32 v103, 0                                      // 000000003808: 7ECE0280
	v_mov_b32_e32 v135, 0                                      // 00000000380C: 7F0E0280
	v_mov_b32_e32 v104, 0                                      // 000000003810: 7ED00280
	v_mov_b32_e32 v136, 0                                      // 000000003814: 7F100280
	v_mov_b32_e32 v105, 0                                      // 000000003818: 7ED20280
	v_mov_b32_e32 v137, 0                                      // 00000000381C: 7F120280
	v_mov_b32_e32 v106, 0                                      // 000000003820: 7ED40280
	v_mov_b32_e32 v138, 0                                      // 000000003824: 7F140280
	v_mov_b32_e32 v107, 0                                      // 000000003828: 7ED60280
	v_mov_b32_e32 v139, 0                                      // 00000000382C: 7F160280
	v_mov_b32_e32 v108, 0                                      // 000000003830: 7ED80280
	v_mov_b32_e32 v140, 0                                      // 000000003834: 7F180280
	v_mov_b32_e32 v109, 0                                      // 000000003838: 7EDA0280
	v_mov_b32_e32 v141, 0                                      // 00000000383C: 7F1A0280
	v_mov_b32_e32 v110, 0                                      // 000000003840: 7EDC0280
	v_mov_b32_e32 v142, 0                                      // 000000003844: 7F1C0280
	v_mov_b32_e32 v111, 0                                      // 000000003848: 7EDE0280
	v_mov_b32_e32 v143, 0                                      // 00000000384C: 7F1E0280
	v_mov_b32_e32 v112, 0                                      // 000000003850: 7EE00280
	v_mov_b32_e32 v144, 0                                      // 000000003854: 7F200280
	v_mov_b32_e32 v113, 0                                      // 000000003858: 7EE20280
	v_mov_b32_e32 v145, 0                                      // 00000000385C: 7F220280
	v_mov_b32_e32 v114, 0                                      // 000000003860: 7EE40280
	v_mov_b32_e32 v146, 0                                      // 000000003864: 7F240280
	v_mov_b32_e32 v115, 0                                      // 000000003868: 7EE60280
	v_mov_b32_e32 v147, 0                                      // 00000000386C: 7F260280
	v_mov_b32_e32 v116, 0                                      // 000000003870: 7EE80280
	v_mov_b32_e32 v148, 0                                      // 000000003874: 7F280280
	v_mov_b32_e32 v117, 0                                      // 000000003878: 7EEA0280
	v_mov_b32_e32 v149, 0                                      // 00000000387C: 7F2A0280
	v_mov_b32_e32 v118, 0                                      // 000000003880: 7EEC0280
	v_mov_b32_e32 v150, 0                                      // 000000003884: 7F2C0280
	v_mov_b32_e32 v119, 0                                      // 000000003888: 7EEE0280
	v_mov_b32_e32 v151, 0                                      // 00000000388C: 7F2E0280
	v_mov_b32_e32 v120, 0                                      // 000000003890: 7EF00280
	v_mov_b32_e32 v152, 0                                      // 000000003894: 7F300280
	v_mov_b32_e32 v121, 0                                      // 000000003898: 7EF20280
	v_mov_b32_e32 v153, 0                                      // 00000000389C: 7F320280
	v_mov_b32_e32 v122, 0                                      // 0000000038A0: 7EF40280
	v_mov_b32_e32 v154, 0                                      // 0000000038A4: 7F340280
	v_mov_b32_e32 v123, 0                                      // 0000000038A8: 7EF60280
	v_mov_b32_e32 v155, 0                                      // 0000000038AC: 7F360280
	v_mov_b32_e32 v124, 0                                      // 0000000038B0: 7EF80280
	v_mov_b32_e32 v156, 0                                      // 0000000038B4: 7F380280
	v_mov_b32_e32 v125, 0                                      // 0000000038B8: 7EFA0280
	v_mov_b32_e32 v157, 0                                      // 0000000038BC: 7F3A0280
	v_mov_b32_e32 v126, 0                                      // 0000000038C0: 7EFC0280
	v_mov_b32_e32 v158, 0                                      // 0000000038C4: 7F3C0280
	v_mov_b32_e32 v127, 0                                      // 0000000038C8: 7EFE0280
	v_mov_b32_e32 v159, 0                                      // 0000000038CC: 7F3E0280
	v_lshrrev_b32_e32 v52, 4, v0                               // 0000000038D0: 20680084
	v_mul_lo_u32 v4, 34, v52                                   // 0000000038D4: D2850004 000268A2
	v_and_b32_e32 v52, 15, v0                                  // 0000000038DC: 2668008F
	v_mul_lo_u32 v53, 2, v52                                   // 0000000038E0: D2850035 00026882
	v_add_u32_e32 v4, v53, v4                                  // 0000000038E8: 68080935
	s_mul_i32 s56, s7, 0x88                                    // 0000000038EC: 9238FF07 00000088
	v_add_u32_e32 v4, s56, v4                                  // 0000000038F4: 68080838
	v_lshlrev_b32_e32 v4, 2, v4                                // 0000000038F8: 24080882
	v_lshrrev_b32_e32 v52, 1, v0                               // 0000000038FC: 20680081
	v_mul_lo_u32 v6, 34, v52                                   // 000000003900: D2850006 000268A2
	v_and_b32_e32 v53, 1, v0                                   // 000000003908: 266A0081
	v_add_u32_e32 v6, v53, v6                                  // 00000000390C: 680C0D35
	s_mov_b32 s56, 0                                           // 000000003910: BEB80080
	s_lshr_b32 s57, s7, 1                                      // 000000003914: 8F398107
	s_mul_i32 s57, s57, 8                                      // 000000003918: 92398839
	s_add_u32 s56, s57, s56                                    // 00000000391C: 80383839
	s_and_b32 s57, s7, 1                                       // 000000003920: 86398107
	s_mul_i32 s57, s57, 2                                      // 000000003924: 92398239
	s_add_u32 s56, s57, s56                                    // 000000003928: 80383839
	s_mul_i32 s56, 2, s56                                      // 00000000392C: 92383882
	v_add_u32_e32 v6, s56, v6                                  // 000000003930: 680C0C38
	v_lshlrev_b32_e32 v6, 2, v6                                // 000000003934: 240C0C82
	s_waitcnt vmcnt(16)                                        // 000000003938: BF8C4F70
	s_barrier                                                  // 00000000393C: BF8A0000
	ds_read_b128 a[128:131], v2                                // 000000003940: DBFE0000 80000002
	ds_read_b128 a[132:135], v2 offset:64                      // 000000003948: DBFE0040 84000002
	ds_read_b128 a[136:139], v2 offset:4224                    // 000000003950: DBFE1080 88000002
	ds_read_b128 a[140:143], v2 offset:4288                    // 000000003958: DBFE10C0 8C000002
	ds_read_b128 a[144:147], v2 offset:512                     // 000000003960: DBFE0200 90000002
	ds_read_b128 a[148:151], v2 offset:576                     // 000000003968: DBFE0240 94000002
	ds_read_b128 a[152:155], v2 offset:4736                    // 000000003970: DBFE1280 98000002
	ds_read_b128 a[156:159], v2 offset:4800                    // 000000003978: DBFE12C0 9C000002
	ds_read_b32 v21, v3 offset:8448                            // 000000003980: D86C2100 15000003
	ds_read_b32 v22, v3 offset:8704                            // 000000003988: D86C2200 16000003
	ds_read_b32 v23, v3 offset:8960                            // 000000003990: D86C2300 17000003
	ds_read_b32 v24, v3 offset:9216                            // 000000003998: D86C2400 18000003
	s_cmp_lt_i32 s7, 2                                         // 0000000039A0: BF048207
	s_cbranch_scc0 label_0B85                                  // 0000000039A4: BF84089B

00000000000039a8 <label_02EA>:
	s_waitcnt vmcnt(12) lgkmcnt(0)                             // 0000000039A8: BF8C007C
	s_barrier                                                  // 0000000039AC: BF8A0000
	v_mfma_f32_16x16x128_f8f6f4 v[128:131], a[0:7], a[128:135], 0// 0000000039B0: D3AD0080 1A030100
	v_mfma_f32_16x16x128_f8f6f4 v[132:135], a[0:7], a[144:151], 0// 0000000039B8: D3AD0084 1A032100
	buffer_load_dwordx4 v35, s[20:23], 0 offen lds             // 0000000039C0: E05D1000 80050023
	s_add_u32 m0, 0x1080, s49                                  // 0000000039C8: 807C31FF 00001080
	buffer_load_dwordx4 v36, s[20:23], 0 offen lds             // 0000000039D0: E05D1000 80050024
	s_add_u32 m0, m0, s72                                      // 0000000039D8: 807C487C
	buffer_load_dword v9, s[28:31], 0 offen lds                // 0000000039DC: E0511000 80070009
	s_add_u32 m0, 0, s48                                       // 0000000039E4: 807C3080
	buffer_load_dword v30, v19, s[32:35], 0 offen              // 0000000039E8: E0501000 80081E13
	buffer_load_dwordx4 a[64:67], v39, s[96:99], 0 offen       // 0000000039F0: E05C1000 80984027
	buffer_load_dwordx4 a[68:71], v39, s[96:99], 0 offen offset:1024// 0000000039F8: E05C1400 80984427
	v_mfma_f32_16x16x128_f8f6f4 v[136:139], a[8:15], a[128:135], 0// 000000003A00: D3AD0088 1A030108
	v_mfma_f32_16x16x128_f8f6f4 v[140:143], a[8:15], a[144:151], 0// 000000003A08: D3AD008C 1A032108
	buffer_load_dwordx4 a[72:75], v40, s[96:99], 0 offen       // 000000003A10: E05C1000 80984828
	buffer_load_dwordx4 a[76:79], v40, s[96:99], 0 offen offset:1024// 000000003A18: E05C1400 80984C28
	s_waitcnt vmcnt(16)                                        // 000000003A20: BF8C4F70
	v_mfma_f32_16x16x128_f8f6f4 v[144:147], a[16:23], a[128:135], 0// 000000003A24: D3AD0090 1A030110
	v_mfma_f32_16x16x128_f8f6f4 v[148:151], a[16:23], a[144:151], 0// 000000003A2C: D3AD0094 1A032110
	buffer_load_dwordx4 a[80:83], v41, s[96:99], 0 offen       // 000000003A34: E05C1000 80985029
	buffer_load_dwordx4 a[84:87], v41, s[96:99], 0 offen offset:1024// 000000003A3C: E05C1400 80985429
	v_mfma_f32_16x16x128_f8f6f4 v[152:155], a[24:31], a[128:135], 0// 000000003A44: D3AD0098 1A030118
	v_mfma_f32_16x16x128_f8f6f4 v[156:159], a[24:31], a[144:151], 0// 000000003A4C: D3AD009C 1A032118
	buffer_load_dwordx4 a[88:91], v42, s[96:99], 0 offen       // 000000003A54: E05C1000 8098582A
	buffer_load_dwordx4 a[92:95], v42, s[96:99], 0 offen offset:1024// 000000003A5C: E05C1400 80985C2A
	v_mul_f32_dpp v52, v29, v21 row_newbcast:0 row_mask:0xf bank_mask:0xf// 000000003A64: 0A682AFA FF01501D
	v_mov_b32_e32 v53, v52                                     // 000000003A6C: 7E6A0334
	v_pk_fma_f32 v[64:65], v[128:129], v[52:53], v[64:65]      // 000000003A70: D3B04040 1D026980
	v_pk_fma_f32 v[66:67], v[130:131], v[52:53], v[66:67]      // 000000003A78: D3B04042 1D0A6982
	v_pk_fma_f32 v[72:73], v[136:137], v[52:53], v[72:73]      // 000000003A80: D3B04048 1D226988
	v_pk_fma_f32 v[74:75], v[138:139], v[52:53], v[74:75]      // 000000003A88: D3B0404A 1D2A698A
	v_mul_f32_dpp v52, v29, v21 row_newbcast:1 row_mask:0xf bank_mask:0xf// 000000003A90: 0A682AFA FF01511D
	v_mov_b32_e32 v53, v52                                     // 000000003A98: 7E6A0334
	v_pk_fma_f32 v[80:81], v[144:145], v[52:53], v[80:81]      // 000000003A9C: D3B04050 1D426990
	v_pk_fma_f32 v[82:83], v[146:147], v[52:53], v[82:83]      // 000000003AA4: D3B04052 1D4A6992
	v_pk_fma_f32 v[88:89], v[152:153], v[52:53], v[88:89]      // 000000003AAC: D3B04058 1D626998
	v_pk_fma_f32 v[90:91], v[154:155], v[52:53], v[90:91]      // 000000003AB4: D3B0405A 1D6A699A
	v_mul_f32_dpp v52, v29, v22 row_newbcast:0 row_mask:0xf bank_mask:0xf// 000000003ABC: 0A682CFA FF01501D
	v_mov_b32_e32 v53, v52                                     // 000000003AC4: 7E6A0334
	v_pk_fma_f32 v[68:69], v[132:133], v[52:53], v[68:69]      // 000000003AC8: D3B04044 1D126984
	v_pk_fma_f32 v[70:71], v[134:135], v[52:53], v[70:71]      // 000000003AD0: D3B04046 1D1A6986
	v_pk_fma_f32 v[76:77], v[140:141], v[52:53], v[76:77]      // 000000003AD8: D3B0404C 1D32698C
	v_pk_fma_f32 v[78:79], v[142:143], v[52:53], v[78:79]      // 000000003AE0: D3B0404E 1D3A698E
	v_mul_f32_dpp v52, v29, v22 row_newbcast:1 row_mask:0xf bank_mask:0xf// 000000003AE8: 0A682CFA FF01511D
	v_mov_b32_e32 v53, v52                                     // 000000003AF0: 7E6A0334
	v_pk_fma_f32 v[84:85], v[148:149], v[52:53], v[84:85]      // 000000003AF4: D3B04054 1D526994
	v_pk_fma_f32 v[86:87], v[150:151], v[52:53], v[86:87]      // 000000003AFC: D3B04056 1D5A6996
	v_pk_fma_f32 v[92:93], v[156:157], v[52:53], v[92:93]      // 000000003B04: D3B0405C 1D72699C
	v_pk_fma_f32 v[94:95], v[158:159], v[52:53], v[94:95]      // 000000003B0C: D3B0405E 1D7A699E
	s_waitcnt vmcnt(16)                                        // 000000003B14: BF8C4F70
	v_mfma_f32_16x16x128_f8f6f4 v[128:131], a[32:39], a[136:143], 0// 000000003B18: D3AD0080 1A031120
	v_mfma_f32_16x16x128_f8f6f4 v[132:135], a[32:39], a[152:159], 0// 000000003B20: D3AD0084 1A033120
	buffer_load_dwordx4 a[96:99], v39, s[96:99], 0 offen offset:2048// 000000003B28: E05C1800 80986027
	buffer_load_dwordx4 a[100:103], v39, s[96:99], 0 offen offset:3072// 000000003B30: E05C1C00 80986427
	v_mfma_f32_16x16x128_f8f6f4 v[136:139], a[40:47], a[136:143], 0// 000000003B38: D3AD0088 1A031128
	v_mfma_f32_16x16x128_f8f6f4 v[140:143], a[40:47], a[152:159], 0// 000000003B40: D3AD008C 1A033128
	buffer_load_dwordx4 a[104:107], v40, s[96:99], 0 offen offset:2048// 000000003B48: E05C1800 80986828
	buffer_load_dwordx4 a[108:111], v40, s[96:99], 0 offen offset:3072// 000000003B50: E05C1C00 80986C28
	s_waitcnt vmcnt(16)                                        // 000000003B58: BF8C4F70
	v_mfma_f32_16x16x128_f8f6f4 v[144:147], a[48:55], a[136:143], 0// 000000003B5C: D3AD0090 1A031130
	v_mfma_f32_16x16x128_f8f6f4 v[148:151], a[48:55], a[152:159], 0// 000000003B64: D3AD0094 1A033130
	buffer_load_dwordx4 a[112:115], v41, s[96:99], 0 offen offset:2048// 000000003B6C: E05C1800 80987029
	buffer_load_dwordx4 a[116:119], v41, s[96:99], 0 offen offset:3072// 000000003B74: E05C1C00 80987429
	v_mfma_f32_16x16x128_f8f6f4 v[152:155], a[56:63], a[136:143], 0// 000000003B7C: D3AD0098 1A031138
	v_mfma_f32_16x16x128_f8f6f4 v[156:159], a[56:63], a[152:159], 0// 000000003B84: D3AD009C 1A033138
	buffer_load_dwordx4 a[120:123], v42, s[96:99], 0 offen offset:2048// 000000003B8C: E05C1800 8098782A
	buffer_load_dwordx4 a[124:127], v42, s[96:99], 0 offen offset:3072// 000000003B94: E05C1C00 80987C2A
	v_mul_f32_dpp v52, v29, v23 row_newbcast:2 row_mask:0xf bank_mask:0xf// 000000003B9C: 0A682EFA FF01521D
	v_mov_b32_e32 v53, v52                                     // 000000003BA4: 7E6A0334
	v_pk_fma_f32 v[64:65], v[128:129], v[52:53], v[64:65]      // 000000003BA8: D3B04040 1D026980
	v_pk_fma_f32 v[66:67], v[130:131], v[52:53], v[66:67]      // 000000003BB0: D3B04042 1D0A6982
	v_pk_fma_f32 v[72:73], v[136:137], v[52:53], v[72:73]      // 000000003BB8: D3B04048 1D226988
	v_pk_fma_f32 v[74:75], v[138:139], v[52:53], v[74:75]      // 000000003BC0: D3B0404A 1D2A698A
	v_mul_f32_dpp v52, v29, v23 row_newbcast:3 row_mask:0xf bank_mask:0xf// 000000003BC8: 0A682EFA FF01531D
	v_mov_b32_e32 v53, v52                                     // 000000003BD0: 7E6A0334
	v_pk_fma_f32 v[80:81], v[144:145], v[52:53], v[80:81]      // 000000003BD4: D3B04050 1D426990
	v_pk_fma_f32 v[82:83], v[146:147], v[52:53], v[82:83]      // 000000003BDC: D3B04052 1D4A6992
	v_pk_fma_f32 v[88:89], v[152:153], v[52:53], v[88:89]      // 000000003BE4: D3B04058 1D626998
	v_pk_fma_f32 v[90:91], v[154:155], v[52:53], v[90:91]      // 000000003BEC: D3B0405A 1D6A699A
	v_mul_f32_dpp v52, v29, v24 row_newbcast:2 row_mask:0xf bank_mask:0xf// 000000003BF4: 0A6830FA FF01521D
	v_mov_b32_e32 v53, v52                                     // 000000003BFC: 7E6A0334
	v_pk_fma_f32 v[68:69], v[132:133], v[52:53], v[68:69]      // 000000003C00: D3B04044 1D126984
	v_pk_fma_f32 v[70:71], v[134:135], v[52:53], v[70:71]      // 000000003C08: D3B04046 1D1A6986
	v_pk_fma_f32 v[76:77], v[140:141], v[52:53], v[76:77]      // 000000003C10: D3B0404C 1D32698C
	v_pk_fma_f32 v[78:79], v[142:143], v[52:53], v[78:79]      // 000000003C18: D3B0404E 1D3A698E
	v_mul_f32_dpp v52, v29, v24 row_newbcast:3 row_mask:0xf bank_mask:0xf// 000000003C20: 0A6830FA FF01531D
	v_mov_b32_e32 v53, v52                                     // 000000003C28: 7E6A0334
	v_pk_fma_f32 v[84:85], v[148:149], v[52:53], v[84:85]      // 000000003C2C: D3B04054 1D526994
	v_pk_fma_f32 v[86:87], v[150:151], v[52:53], v[86:87]      // 000000003C34: D3B04056 1D5A6996
	v_pk_fma_f32 v[92:93], v[156:157], v[52:53], v[92:93]      // 000000003C3C: D3B0405C 1D72699C
	v_pk_fma_f32 v[94:95], v[158:159], v[52:53], v[94:95]      // 000000003C44: D3B0405E 1D7A699E
	s_add_u32 s56, 0x100, s76                                  // 000000003C4C: 80384CFF 00000100
	s_cmp_lt_u32 s56, s77                                      // 000000003C54: BF0A4D38
	s_cselect_b32 s4, s4, 0                                    // 000000003C58: 85048004
	s_add_u32 s32, s4, s32                                     // 000000003C5C: 80202004
	s_addc_u32 s33, 0, s33                                     // 000000003C60: 82212180
	s_waitcnt vmcnt(12)                                        // 000000003C64: BF8C0F7C
	s_barrier                                                  // 000000003C68: BF8A0000
	v_mfma_f32_16x16x128_f8f6f4 v[128:131], a[64:71], a[128:135], 0// 000000003C6C: D3AD0080 1A030140
	v_mfma_f32_16x16x128_f8f6f4 v[132:135], a[64:71], a[144:151], 0// 000000003C74: D3AD0084 1A032140
	buffer_load_dword v29, v17, s[32:35], 0 offen              // 000000003C7C: E0501000 80081D11
	buffer_load_dwordx4 a[0:3], v39, s[24:27], 0 offen         // 000000003C84: E05C1000 80860027
	buffer_load_dwordx4 a[4:7], v39, s[24:27], 0 offen offset:1024// 000000003C8C: E05C1400 80860427
	v_mfma_f32_16x16x128_f8f6f4 v[136:139], a[72:79], a[128:135], 0// 000000003C94: D3AD0088 1A030148
	v_mfma_f32_16x16x128_f8f6f4 v[140:143], a[72:79], a[144:151], 0// 000000003C9C: D3AD008C 1A032148
	buffer_load_dwordx4 a[8:11], v40, s[24:27], 0 offen        // 000000003CA4: E05C1000 80860828
	buffer_load_dwordx4 a[12:15], v40, s[24:27], 0 offen offset:1024// 000000003CAC: E05C1400 80860C28
	s_waitcnt vmcnt(13)                                        // 000000003CB4: BF8C0F7D
	v_mfma_f32_16x16x128_f8f6f4 v[144:147], a[80:87], a[128:135], 0// 000000003CB8: D3AD0090 1A030150
	v_mfma_f32_16x16x128_f8f6f4 v[148:151], a[80:87], a[144:151], 0// 000000003CC0: D3AD0094 1A032150
	buffer_load_dwordx4 a[16:19], v41, s[24:27], 0 offen       // 000000003CC8: E05C1000 80861029
	buffer_load_dwordx4 a[20:23], v41, s[24:27], 0 offen offset:1024// 000000003CD0: E05C1400 80861429
	v_mfma_f32_16x16x128_f8f6f4 v[152:155], a[88:95], a[128:135], 0// 000000003CD8: D3AD0098 1A030158
	v_mfma_f32_16x16x128_f8f6f4 v[156:159], a[88:95], a[144:151], 0// 000000003CE0: D3AD009C 1A032158
	buffer_load_dwordx4 a[24:27], v42, s[24:27], 0 offen       // 000000003CE8: E05C1000 8086182A
	buffer_load_dwordx4 a[28:31], v42, s[24:27], 0 offen offset:1024// 000000003CF0: E05C1400 80861C2A
	v_mul_f32_dpp v52, v30, v21 row_newbcast:0 row_mask:0xf bank_mask:0xf// 000000003CF8: 0A682AFA FF01501E
	v_mov_b32_e32 v53, v52                                     // 000000003D00: 7E6A0334
	v_pk_fma_f32 v[96:97], v[128:129], v[52:53], v[96:97]      // 000000003D04: D3B04060 1D826980
	v_pk_fma_f32 v[98:99], v[130:131], v[52:53], v[98:99]      // 000000003D0C: D3B04062 1D8A6982
	v_pk_fma_f32 v[104:105], v[136:137], v[52:53], v[104:105]  // 000000003D14: D3B04068 1DA26988
	v_pk_fma_f32 v[106:107], v[138:139], v[52:53], v[106:107]  // 000000003D1C: D3B0406A 1DAA698A
	v_mul_f32_dpp v52, v30, v21 row_newbcast:1 row_mask:0xf bank_mask:0xf// 000000003D24: 0A682AFA FF01511E
	v_mov_b32_e32 v53, v52                                     // 000000003D2C: 7E6A0334
	v_pk_fma_f32 v[112:113], v[144:145], v[52:53], v[112:113]  // 000000003D30: D3B04070 1DC26990
	v_pk_fma_f32 v[114:115], v[146:147], v[52:53], v[114:115]  // 000000003D38: D3B04072 1DCA6992
	v_pk_fma_f32 v[120:121], v[152:153], v[52:53], v[120:121]  // 000000003D40: D3B04078 1DE26998
	v_pk_fma_f32 v[122:123], v[154:155], v[52:53], v[122:123]  // 000000003D48: D3B0407A 1DEA699A
	v_mul_f32_dpp v52, v30, v22 row_newbcast:0 row_mask:0xf bank_mask:0xf// 000000003D50: 0A682CFA FF01501E
	v_mov_b32_e32 v53, v52                                     // 000000003D58: 7E6A0334
	v_pk_fma_f32 v[100:101], v[132:133], v[52:53], v[100:101]  // 000000003D5C: D3B04064 1D926984
	v_pk_fma_f32 v[102:103], v[134:135], v[52:53], v[102:103]  // 000000003D64: D3B04066 1D9A6986
	v_pk_fma_f32 v[108:109], v[140:141], v[52:53], v[108:109]  // 000000003D6C: D3B0406C 1DB2698C
	v_pk_fma_f32 v[110:111], v[142:143], v[52:53], v[110:111]  // 000000003D74: D3B0406E 1DBA698E
	v_mul_f32_dpp v52, v30, v22 row_newbcast:1 row_mask:0xf bank_mask:0xf// 000000003D7C: 0A682CFA FF01511E
	v_mov_b32_e32 v53, v52                                     // 000000003D84: 7E6A0334
	v_pk_fma_f32 v[116:117], v[148:149], v[52:53], v[116:117]  // 000000003D88: D3B04074 1DD26994
	v_pk_fma_f32 v[118:119], v[150:151], v[52:53], v[118:119]  // 000000003D90: D3B04076 1DDA6996
	v_pk_fma_f32 v[124:125], v[156:157], v[52:53], v[124:125]  // 000000003D98: D3B0407C 1DF2699C
	v_pk_fma_f32 v[126:127], v[158:159], v[52:53], v[126:127]  // 000000003DA0: D3B0407E 1DFA699E
	s_waitcnt vmcnt(13)                                        // 000000003DA8: BF8C0F7D
	v_mfma_f32_16x16x128_f8f6f4 v[128:131], a[96:103], a[136:143], 0// 000000003DAC: D3AD0080 1A031160
	ds_read_b128 a[160:163], v2 offset:9472                    // 000000003DB4: DBFE2500 A0000002
	ds_read_b128 a[164:167], v2 offset:9536                    // 000000003DBC: DBFE2540 A4000002
	ds_read_b32 v25, v3 offset:17920                           // 000000003DC4: D86C4600 19000003
	v_mfma_f32_16x16x128_f8f6f4 v[132:135], a[96:103], a[152:159], 0// 000000003DCC: D3AD0084 1A033160
	buffer_load_dwordx4 a[32:35], v39, s[24:27], 0 offen offset:2048// 000000003DD4: E05C1800 80862027
	buffer_load_dwordx4 a[36:39], v39, s[24:27], 0 offen offset:3072// 000000003DDC: E05C1C00 80862427
	v_mfma_f32_16x16x128_f8f6f4 v[136:139], a[104:111], a[136:143], 0// 000000003DE4: D3AD0088 1A031168
	ds_read_b128 a[168:171], v2 offset:13696                   // 000000003DEC: DBFE3580 A8000002
	ds_read_b128 a[172:175], v2 offset:13760                   // 000000003DF4: DBFE35C0 AC000002
	ds_read_b32 v26, v3 offset:18176                           // 000000003DFC: D86C4700 1A000003
	v_mfma_f32_16x16x128_f8f6f4 v[140:143], a[104:111], a[152:159], 0// 000000003E04: D3AD008C 1A033168
	buffer_load_dwordx4 a[40:43], v40, s[24:27], 0 offen offset:2048// 000000003E0C: E05C1800 80862828
	buffer_load_dwordx4 a[44:47], v40, s[24:27], 0 offen offset:3072// 000000003E14: E05C1C00 80862C28
	s_waitcnt vmcnt(13)                                        // 000000003E1C: BF8C0F7D
	v_mfma_f32_16x16x128_f8f6f4 v[144:147], a[112:119], a[136:143], 0// 000000003E20: D3AD0090 1A031170
	ds_read_b128 a[176:179], v2 offset:9984                    // 000000003E28: DBFE2700 B0000002
	ds_read_b128 a[180:183], v2 offset:10048                   // 000000003E30: DBFE2740 B4000002
	ds_read_b32 v27, v3 offset:18432                           // 000000003E38: D86C4800 1B000003
	v_mfma_f32_16x16x128_f8f6f4 v[148:151], a[112:119], a[152:159], 0// 000000003E40: D3AD0094 1A033170
	buffer_load_dwordx4 a[48:51], v41, s[24:27], 0 offen offset:2048// 000000003E48: E05C1800 80863029
	buffer_load_dwordx4 a[52:55], v41, s[24:27], 0 offen offset:3072// 000000003E50: E05C1C00 80863429
	v_mfma_f32_16x16x128_f8f6f4 v[152:155], a[120:127], a[136:143], 0// 000000003E58: D3AD0098 1A031178
	ds_read_b128 a[184:187], v2 offset:14208                   // 000000003E60: DBFE3780 B8000002
	ds_read_b128 a[188:191], v2 offset:14272                   // 000000003E68: DBFE37C0 BC000002
	ds_read_b32 v28, v3 offset:18688                           // 000000003E70: D86C4900 1C000003
	v_mfma_f32_16x16x128_f8f6f4 v[156:159], a[120:127], a[152:159], 0// 000000003E78: D3AD009C 1A033178
	buffer_load_dwordx4 a[56:59], v42, s[24:27], 0 offen offset:2048// 000000003E80: E05C1800 8086382A
	buffer_load_dwordx4 a[60:63], v42, s[24:27], 0 offen offset:3072// 000000003E88: E05C1C00 80863C2A
	v_mul_f32_dpp v52, v30, v23 row_newbcast:2 row_mask:0xf bank_mask:0xf// 000000003E90: 0A682EFA FF01521E
	v_mov_b32_e32 v53, v52                                     // 000000003E98: 7E6A0334
	v_pk_fma_f32 v[96:97], v[128:129], v[52:53], v[96:97]      // 000000003E9C: D3B04060 1D826980
	v_pk_fma_f32 v[98:99], v[130:131], v[52:53], v[98:99]      // 000000003EA4: D3B04062 1D8A6982
	v_pk_fma_f32 v[104:105], v[136:137], v[52:53], v[104:105]  // 000000003EAC: D3B04068 1DA26988
	v_pk_fma_f32 v[106:107], v[138:139], v[52:53], v[106:107]  // 000000003EB4: D3B0406A 1DAA698A
	v_mul_f32_dpp v52, v30, v23 row_newbcast:3 row_mask:0xf bank_mask:0xf// 000000003EBC: 0A682EFA FF01531E
	v_mov_b32_e32 v53, v52                                     // 000000003EC4: 7E6A0334
	v_pk_fma_f32 v[112:113], v[144:145], v[52:53], v[112:113]  // 000000003EC8: D3B04070 1DC26990
	v_pk_fma_f32 v[114:115], v[146:147], v[52:53], v[114:115]  // 000000003ED0: D3B04072 1DCA6992
	v_pk_fma_f32 v[120:121], v[152:153], v[52:53], v[120:121]  // 000000003ED8: D3B04078 1DE26998
	v_pk_fma_f32 v[122:123], v[154:155], v[52:53], v[122:123]  // 000000003EE0: D3B0407A 1DEA699A
	v_mul_f32_dpp v52, v30, v24 row_newbcast:2 row_mask:0xf bank_mask:0xf// 000000003EE8: 0A6830FA FF01521E
	v_mov_b32_e32 v53, v52                                     // 000000003EF0: 7E6A0334
	v_pk_fma_f32 v[100:101], v[132:133], v[52:53], v[100:101]  // 000000003EF4: D3B04064 1D926984
	v_pk_fma_f32 v[102:103], v[134:135], v[52:53], v[102:103]  // 000000003EFC: D3B04066 1D9A6986
	v_pk_fma_f32 v[108:109], v[140:141], v[52:53], v[108:109]  // 000000003F04: D3B0406C 1DB2698C
	v_pk_fma_f32 v[110:111], v[142:143], v[52:53], v[110:111]  // 000000003F0C: D3B0406E 1DBA698E
	v_mul_f32_dpp v52, v30, v24 row_newbcast:3 row_mask:0xf bank_mask:0xf// 000000003F14: 0A6830FA FF01531E
	v_mov_b32_e32 v53, v52                                     // 000000003F1C: 7E6A0334
	v_pk_fma_f32 v[116:117], v[148:149], v[52:53], v[116:117]  // 000000003F20: D3B04074 1DD26994
	v_pk_fma_f32 v[118:119], v[150:151], v[52:53], v[118:119]  // 000000003F28: D3B04076 1DDA6996
	v_pk_fma_f32 v[124:125], v[156:157], v[52:53], v[124:125]  // 000000003F30: D3B0407C 1DF2699C
	v_pk_fma_f32 v[126:127], v[158:159], v[52:53], v[126:127]  // 000000003F38: D3B0407E 1DFA699E
	s_add_u32 s56, 0x200, s76                                  // 000000003F40: 80384CFF 00000200
	s_cmp_lt_u32 s56, s77                                      // 000000003F48: BF0A4D38
	s_cselect_b32 s53, s53, 0                                  // 000000003F4C: 85358035
	s_cselect_b32 s3, s3, 0                                    // 000000003F50: 85038003
	s_add_u32 s56, 0x200, s76                                  // 000000003F54: 80384CFF 00000200
	s_cmp_lt_u32 s56, s77                                      // 000000003F5C: BF0A4D38
	s_cselect_b32 s54, s54, 0                                  // 000000003F60: 85368036
	s_add_u32 s20, s53, s20                                    // 000000003F64: 80141435
	s_addc_u32 s21, 0, s21                                     // 000000003F68: 82151580
	s_add_u32 s28, s3, s28                                     // 000000003F6C: 801C1C03
	s_addc_u32 s29, 0, s29                                     // 000000003F70: 821D1D80
	s_add_u32 s24, s54, s24                                    // 000000003F74: 80181836
	s_addc_u32 s25, 0, s25                                     // 000000003F78: 82191980
	s_add_u32 s96, s94, s96                                    // 000000003F7C: 8060605E
	s_addc_u32 s97, 0, s97                                     // 000000003F80: 82616180
	s_addk_i32 s76, 0x100                                      // 000000003F84: B74C0100
	s_cmp_lt_i32 s76, s77                                      // 000000003F88: BF044D4C
	s_cbranch_scc0 label_05DF                                  // 000000003F8C: BF84017B
	s_waitcnt vmcnt(12) lgkmcnt(0)                             // 000000003F90: BF8C007C
	s_barrier                                                  // 000000003F94: BF8A0000
	v_mfma_f32_16x16x128_f8f6f4 v[128:131], a[0:7], a[160:167], 0// 000000003F98: D3AD0080 1A034100
	v_mfma_f32_16x16x128_f8f6f4 v[132:135], a[0:7], a[176:183], 0// 000000003FA0: D3AD0084 1A036100
	buffer_load_dwordx4 v35, s[20:23], 0 offen lds             // 000000003FA8: E05D1000 80050023
	s_add_u32 m0, 0x1080, s48                                  // 000000003FB0: 807C30FF 00001080
	buffer_load_dwordx4 v36, s[20:23], 0 offen lds             // 000000003FB8: E05D1000 80050024
	s_add_u32 m0, m0, s72                                      // 000000003FC0: 807C487C
	buffer_load_dword v9, s[28:31], 0 offen lds                // 000000003FC4: E0511000 80070009
	s_add_u32 m0, 0, s49                                       // 000000003FCC: 807C3180
	buffer_load_dword v30, v19, s[32:35], 0 offen              // 000000003FD0: E0501000 80081E13
	buffer_load_dwordx4 a[64:67], v39, s[96:99], 0 offen       // 000000003FD8: E05C1000 80984027
	buffer_load_dwordx4 a[68:71], v39, s[96:99], 0 offen offset:1024// 000000003FE0: E05C1400 80984427
	v_mfma_f32_16x16x128_f8f6f4 v[136:139], a[8:15], a[160:167], 0// 000000003FE8: D3AD0088 1A034108
	v_mfma_f32_16x16x128_f8f6f4 v[140:143], a[8:15], a[176:183], 0// 000000003FF0: D3AD008C 1A036108
	buffer_load_dwordx4 a[72:75], v40, s[96:99], 0 offen       // 000000003FF8: E05C1000 80984828
	buffer_load_dwordx4 a[76:79], v40, s[96:99], 0 offen offset:1024// 000000004000: E05C1400 80984C28
	s_waitcnt vmcnt(16)                                        // 000000004008: BF8C4F70
	v_mfma_f32_16x16x128_f8f6f4 v[144:147], a[16:23], a[160:167], 0// 00000000400C: D3AD0090 1A034110
	v_mfma_f32_16x16x128_f8f6f4 v[148:151], a[16:23], a[176:183], 0// 000000004014: D3AD0094 1A036110
	buffer_load_dwordx4 a[80:83], v41, s[96:99], 0 offen       // 00000000401C: E05C1000 80985029
	buffer_load_dwordx4 a[84:87], v41, s[96:99], 0 offen offset:1024// 000000004024: E05C1400 80985429
	v_mfma_f32_16x16x128_f8f6f4 v[152:155], a[24:31], a[160:167], 0// 00000000402C: D3AD0098 1A034118
	v_mfma_f32_16x16x128_f8f6f4 v[156:159], a[24:31], a[176:183], 0// 000000004034: D3AD009C 1A036118
	buffer_load_dwordx4 a[88:91], v42, s[96:99], 0 offen       // 00000000403C: E05C1000 8098582A
	buffer_load_dwordx4 a[92:95], v42, s[96:99], 0 offen offset:1024// 000000004044: E05C1400 80985C2A
	v_mul_f32_dpp v52, v29, v25 row_newbcast:0 row_mask:0xf bank_mask:0xf// 00000000404C: 0A6832FA FF01501D
	v_mov_b32_e32 v53, v52                                     // 000000004054: 7E6A0334
	v_pk_fma_f32 v[64:65], v[128:129], v[52:53], v[64:65]      // 000000004058: D3B04040 1D026980
	v_pk_fma_f32 v[66:67], v[130:131], v[52:53], v[66:67]      // 000000004060: D3B04042 1D0A6982
	v_pk_fma_f32 v[72:73], v[136:137], v[52:53], v[72:73]      // 000000004068: D3B04048 1D226988
	v_pk_fma_f32 v[74:75], v[138:139], v[52:53], v[74:75]      // 000000004070: D3B0404A 1D2A698A
	v_mul_f32_dpp v52, v29, v25 row_newbcast:1 row_mask:0xf bank_mask:0xf// 000000004078: 0A6832FA FF01511D
	v_mov_b32_e32 v53, v52                                     // 000000004080: 7E6A0334
	v_pk_fma_f32 v[80:81], v[144:145], v[52:53], v[80:81]      // 000000004084: D3B04050 1D426990
	v_pk_fma_f32 v[82:83], v[146:147], v[52:53], v[82:83]      // 00000000408C: D3B04052 1D4A6992
	v_pk_fma_f32 v[88:89], v[152:153], v[52:53], v[88:89]      // 000000004094: D3B04058 1D626998
	v_pk_fma_f32 v[90:91], v[154:155], v[52:53], v[90:91]      // 00000000409C: D3B0405A 1D6A699A
	v_mul_f32_dpp v52, v29, v26 row_newbcast:0 row_mask:0xf bank_mask:0xf// 0000000040A4: 0A6834FA FF01501D
	v_mov_b32_e32 v53, v52                                     // 0000000040AC: 7E6A0334
	v_pk_fma_f32 v[68:69], v[132:133], v[52:53], v[68:69]      // 0000000040B0: D3B04044 1D126984
	v_pk_fma_f32 v[70:71], v[134:135], v[52:53], v[70:71]      // 0000000040B8: D3B04046 1D1A6986
	v_pk_fma_f32 v[76:77], v[140:141], v[52:53], v[76:77]      // 0000000040C0: D3B0404C 1D32698C
	v_pk_fma_f32 v[78:79], v[142:143], v[52:53], v[78:79]      // 0000000040C8: D3B0404E 1D3A698E
	v_mul_f32_dpp v52, v29, v26 row_newbcast:1 row_mask:0xf bank_mask:0xf// 0000000040D0: 0A6834FA FF01511D
	v_mov_b32_e32 v53, v52                                     // 0000000040D8: 7E6A0334
	v_pk_fma_f32 v[84:85], v[148:149], v[52:53], v[84:85]      // 0000000040DC: D3B04054 1D526994
	v_pk_fma_f32 v[86:87], v[150:151], v[52:53], v[86:87]      // 0000000040E4: D3B04056 1D5A6996
	v_pk_fma_f32 v[92:93], v[156:157], v[52:53], v[92:93]      // 0000000040EC: D3B0405C 1D72699C
	v_pk_fma_f32 v[94:95], v[158:159], v[52:53], v[94:95]      // 0000000040F4: D3B0405E 1D7A699E
	s_waitcnt vmcnt(16)                                        // 0000000040FC: BF8C4F70
	v_mfma_f32_16x16x128_f8f6f4 v[128:131], a[32:39], a[168:175], 0// 000000004100: D3AD0080 1A035120
	v_mfma_f32_16x16x128_f8f6f4 v[132:135], a[32:39], a[184:191], 0// 000000004108: D3AD0084 1A037120
	buffer_load_dwordx4 a[96:99], v39, s[96:99], 0 offen offset:2048// 000000004110: E05C1800 80986027
	buffer_load_dwordx4 a[100:103], v39, s[96:99], 0 offen offset:3072// 000000004118: E05C1C00 80986427
	v_mfma_f32_16x16x128_f8f6f4 v[136:139], a[40:47], a[168:175], 0// 000000004120: D3AD0088 1A035128
	v_mfma_f32_16x16x128_f8f6f4 v[140:143], a[40:47], a[184:191], 0// 000000004128: D3AD008C 1A037128
	buffer_load_dwordx4 a[104:107], v40, s[96:99], 0 offen offset:2048// 000000004130: E05C1800 80986828
	buffer_load_dwordx4 a[108:111], v40, s[96:99], 0 offen offset:3072// 000000004138: E05C1C00 80986C28
	s_waitcnt vmcnt(16)                                        // 000000004140: BF8C4F70
	v_mfma_f32_16x16x128_f8f6f4 v[144:147], a[48:55], a[168:175], 0// 000000004144: D3AD0090 1A035130
	v_mfma_f32_16x16x128_f8f6f4 v[148:151], a[48:55], a[184:191], 0// 00000000414C: D3AD0094 1A037130
	buffer_load_dwordx4 a[112:115], v41, s[96:99], 0 offen offset:2048// 000000004154: E05C1800 80987029
	buffer_load_dwordx4 a[116:119], v41, s[96:99], 0 offen offset:3072// 00000000415C: E05C1C00 80987429
	v_mfma_f32_16x16x128_f8f6f4 v[152:155], a[56:63], a[168:175], 0// 000000004164: D3AD0098 1A035138
	v_mfma_f32_16x16x128_f8f6f4 v[156:159], a[56:63], a[184:191], 0// 00000000416C: D3AD009C 1A037138
	buffer_load_dwordx4 a[120:123], v42, s[96:99], 0 offen offset:2048// 000000004174: E05C1800 8098782A
	buffer_load_dwordx4 a[124:127], v42, s[96:99], 0 offen offset:3072// 00000000417C: E05C1C00 80987C2A
	v_mul_f32_dpp v52, v29, v27 row_newbcast:2 row_mask:0xf bank_mask:0xf// 000000004184: 0A6836FA FF01521D
	v_mov_b32_e32 v53, v52                                     // 00000000418C: 7E6A0334
	v_pk_fma_f32 v[64:65], v[128:129], v[52:53], v[64:65]      // 000000004190: D3B04040 1D026980
	v_pk_fma_f32 v[66:67], v[130:131], v[52:53], v[66:67]      // 000000004198: D3B04042 1D0A6982
	v_pk_fma_f32 v[72:73], v[136:137], v[52:53], v[72:73]      // 0000000041A0: D3B04048 1D226988
	v_pk_fma_f32 v[74:75], v[138:139], v[52:53], v[74:75]      // 0000000041A8: D3B0404A 1D2A698A
	v_mul_f32_dpp v52, v29, v27 row_newbcast:3 row_mask:0xf bank_mask:0xf// 0000000041B0: 0A6836FA FF01531D
	v_mov_b32_e32 v53, v52                                     // 0000000041B8: 7E6A0334
	v_pk_fma_f32 v[80:81], v[144:145], v[52:53], v[80:81]      // 0000000041BC: D3B04050 1D426990
	v_pk_fma_f32 v[82:83], v[146:147], v[52:53], v[82:83]      // 0000000041C4: D3B04052 1D4A6992
	v_pk_fma_f32 v[88:89], v[152:153], v[52:53], v[88:89]      // 0000000041CC: D3B04058 1D626998
	v_pk_fma_f32 v[90:91], v[154:155], v[52:53], v[90:91]      // 0000000041D4: D3B0405A 1D6A699A
	v_mul_f32_dpp v52, v29, v28 row_newbcast:2 row_mask:0xf bank_mask:0xf// 0000000041DC: 0A6838FA FF01521D
	v_mov_b32_e32 v53, v52                                     // 0000000041E4: 7E6A0334
	v_pk_fma_f32 v[68:69], v[132:133], v[52:53], v[68:69]      // 0000000041E8: D3B04044 1D126984
	v_pk_fma_f32 v[70:71], v[134:135], v[52:53], v[70:71]      // 0000000041F0: D3B04046 1D1A6986
	v_pk_fma_f32 v[76:77], v[140:141], v[52:53], v[76:77]      // 0000000041F8: D3B0404C 1D32698C
	v_pk_fma_f32 v[78:79], v[142:143], v[52:53], v[78:79]      // 000000004200: D3B0404E 1D3A698E
	v_mul_f32_dpp v52, v29, v28 row_newbcast:3 row_mask:0xf bank_mask:0xf// 000000004208: 0A6838FA FF01531D
	v_mov_b32_e32 v53, v52                                     // 000000004210: 7E6A0334
	v_pk_fma_f32 v[84:85], v[148:149], v[52:53], v[84:85]      // 000000004214: D3B04054 1D526994
	v_pk_fma_f32 v[86:87], v[150:151], v[52:53], v[86:87]      // 00000000421C: D3B04056 1D5A6996
	v_pk_fma_f32 v[92:93], v[156:157], v[52:53], v[92:93]      // 000000004224: D3B0405C 1D72699C
	v_pk_fma_f32 v[94:95], v[158:159], v[52:53], v[94:95]      // 00000000422C: D3B0405E 1D7A699E
	s_add_u32 s56, 0x100, s76                                  // 000000004234: 80384CFF 00000100
	s_cmp_lt_u32 s56, s77                                      // 00000000423C: BF0A4D38
	s_cselect_b32 s4, s4, 0                                    // 000000004240: 85048004
	s_add_u32 s32, s4, s32                                     // 000000004244: 80202004
	s_addc_u32 s33, 0, s33                                     // 000000004248: 82212180
	s_waitcnt vmcnt(12)                                        // 00000000424C: BF8C0F7C
	s_barrier                                                  // 000000004250: BF8A0000
	v_mfma_f32_16x16x128_f8f6f4 v[128:131], a[64:71], a[160:167], 0// 000000004254: D3AD0080 1A034140
	v_mfma_f32_16x16x128_f8f6f4 v[132:135], a[64:71], a[176:183], 0// 00000000425C: D3AD0084 1A036140
	buffer_load_dword v29, v17, s[32:35], 0 offen              // 000000004264: E0501000 80081D11
	buffer_load_dwordx4 a[0:3], v39, s[24:27], 0 offen         // 00000000426C: E05C1000 80860027
	buffer_load_dwordx4 a[4:7], v39, s[24:27], 0 offen offset:1024// 000000004274: E05C1400 80860427
	v_mfma_f32_16x16x128_f8f6f4 v[136:139], a[72:79], a[160:167], 0// 00000000427C: D3AD0088 1A034148
	v_mfma_f32_16x16x128_f8f6f4 v[140:143], a[72:79], a[176:183], 0// 000000004284: D3AD008C 1A036148
	buffer_load_dwordx4 a[8:11], v40, s[24:27], 0 offen        // 00000000428C: E05C1000 80860828
	buffer_load_dwordx4 a[12:15], v40, s[24:27], 0 offen offset:1024// 000000004294: E05C1400 80860C28
	s_waitcnt vmcnt(13)                                        // 00000000429C: BF8C0F7D
	v_mfma_f32_16x16x128_f8f6f4 v[144:147], a[80:87], a[160:167], 0// 0000000042A0: D3AD0090 1A034150
	v_mfma_f32_16x16x128_f8f6f4 v[148:151], a[80:87], a[176:183], 0// 0000000042A8: D3AD0094 1A036150
	buffer_load_dwordx4 a[16:19], v41, s[24:27], 0 offen       // 0000000042B0: E05C1000 80861029
	buffer_load_dwordx4 a[20:23], v41, s[24:27], 0 offen offset:1024// 0000000042B8: E05C1400 80861429
	v_mfma_f32_16x16x128_f8f6f4 v[152:155], a[88:95], a[160:167], 0// 0000000042C0: D3AD0098 1A034158
	v_mfma_f32_16x16x128_f8f6f4 v[156:159], a[88:95], a[176:183], 0// 0000000042C8: D3AD009C 1A036158
	buffer_load_dwordx4 a[24:27], v42, s[24:27], 0 offen       // 0000000042D0: E05C1000 8086182A
	buffer_load_dwordx4 a[28:31], v42, s[24:27], 0 offen offset:1024// 0000000042D8: E05C1400 80861C2A
	v_mul_f32_dpp v52, v30, v25 row_newbcast:0 row_mask:0xf bank_mask:0xf// 0000000042E0: 0A6832FA FF01501E
	v_mov_b32_e32 v53, v52                                     // 0000000042E8: 7E6A0334
	v_pk_fma_f32 v[96:97], v[128:129], v[52:53], v[96:97]      // 0000000042EC: D3B04060 1D826980
	v_pk_fma_f32 v[98:99], v[130:131], v[52:53], v[98:99]      // 0000000042F4: D3B04062 1D8A6982
	v_pk_fma_f32 v[104:105], v[136:137], v[52:53], v[104:105]  // 0000000042FC: D3B04068 1DA26988
	v_pk_fma_f32 v[106:107], v[138:139], v[52:53], v[106:107]  // 000000004304: D3B0406A 1DAA698A
	v_mul_f32_dpp v52, v30, v25 row_newbcast:1 row_mask:0xf bank_mask:0xf// 00000000430C: 0A6832FA FF01511E
	v_mov_b32_e32 v53, v52                                     // 000000004314: 7E6A0334
	v_pk_fma_f32 v[112:113], v[144:145], v[52:53], v[112:113]  // 000000004318: D3B04070 1DC26990
	v_pk_fma_f32 v[114:115], v[146:147], v[52:53], v[114:115]  // 000000004320: D3B04072 1DCA6992
	v_pk_fma_f32 v[120:121], v[152:153], v[52:53], v[120:121]  // 000000004328: D3B04078 1DE26998
	v_pk_fma_f32 v[122:123], v[154:155], v[52:53], v[122:123]  // 000000004330: D3B0407A 1DEA699A
	v_mul_f32_dpp v52, v30, v26 row_newbcast:0 row_mask:0xf bank_mask:0xf// 000000004338: 0A6834FA FF01501E
	v_mov_b32_e32 v53, v52                                     // 000000004340: 7E6A0334
	v_pk_fma_f32 v[100:101], v[132:133], v[52:53], v[100:101]  // 000000004344: D3B04064 1D926984
	v_pk_fma_f32 v[102:103], v[134:135], v[52:53], v[102:103]  // 00000000434C: D3B04066 1D9A6986
	v_pk_fma_f32 v[108:109], v[140:141], v[52:53], v[108:109]  // 000000004354: D3B0406C 1DB2698C
	v_pk_fma_f32 v[110:111], v[142:143], v[52:53], v[110:111]  // 00000000435C: D3B0406E 1DBA698E
	v_mul_f32_dpp v52, v30, v26 row_newbcast:1 row_mask:0xf bank_mask:0xf// 000000004364: 0A6834FA FF01511E
	v_mov_b32_e32 v53, v52                                     // 00000000436C: 7E6A0334
	v_pk_fma_f32 v[116:117], v[148:149], v[52:53], v[116:117]  // 000000004370: D3B04074 1DD26994
	v_pk_fma_f32 v[118:119], v[150:151], v[52:53], v[118:119]  // 000000004378: D3B04076 1DDA6996
	v_pk_fma_f32 v[124:125], v[156:157], v[52:53], v[124:125]  // 000000004380: D3B0407C 1DF2699C
	v_pk_fma_f32 v[126:127], v[158:159], v[52:53], v[126:127]  // 000000004388: D3B0407E 1DFA699E
	s_waitcnt vmcnt(13)                                        // 000000004390: BF8C0F7D
	v_mfma_f32_16x16x128_f8f6f4 v[128:131], a[96:103], a[168:175], 0// 000000004394: D3AD0080 1A035160
	ds_read_b128 a[128:131], v2                                // 00000000439C: DBFE0000 80000002
	ds_read_b128 a[132:135], v2 offset:64                      // 0000000043A4: DBFE0040 84000002
	ds_read_b32 v21, v3 offset:8448                            // 0000000043AC: D86C2100 15000003
	v_mfma_f32_16x16x128_f8f6f4 v[132:135], a[96:103], a[184:191], 0// 0000000043B4: D3AD0084 1A037160
	buffer_load_dwordx4 a[32:35], v39, s[24:27], 0 offen offset:2048// 0000000043BC: E05C1800 80862027
	buffer_load_dwordx4 a[36:39], v39, s[24:27], 0 offen offset:3072// 0000000043C4: E05C1C00 80862427
	v_mfma_f32_16x16x128_f8f6f4 v[136:139], a[104:111], a[168:175], 0// 0000000043CC: D3AD0088 1A035168
	ds_read_b128 a[136:139], v2 offset:4224                    // 0000000043D4: DBFE1080 88000002
	ds_read_b128 a[140:143], v2 offset:4288                    // 0000000043DC: DBFE10C0 8C000002
	ds_read_b32 v22, v3 offset:8704                            // 0000000043E4: D86C2200 16000003
	v_mfma_f32_16x16x128_f8f6f4 v[140:143], a[104:111], a[184:191], 0// 0000000043EC: D3AD008C 1A037168
	buffer_load_dwordx4 a[40:43], v40, s[24:27], 0 offen offset:2048// 0000000043F4: E05C1800 80862828
	buffer_load_dwordx4 a[44:47], v40, s[24:27], 0 offen offset:3072// 0000000043FC: E05C1C00 80862C28
	s_waitcnt vmcnt(13)                                        // 000000004404: BF8C0F7D
	v_mfma_f32_16x16x128_f8f6f4 v[144:147], a[112:119], a[168:175], 0// 000000004408: D3AD0090 1A035170
	ds_read_b128 a[144:147], v2 offset:512                     // 000000004410: DBFE0200 90000002
	ds_read_b128 a[148:151], v2 offset:576                     // 000000004418: DBFE0240 94000002
	ds_read_b32 v23, v3 offset:8960                            // 000000004420: D86C2300 17000003
	v_mfma_f32_16x16x128_f8f6f4 v[148:151], a[112:119], a[184:191], 0// 000000004428: D3AD0094 1A037170
	buffer_load_dwordx4 a[48:51], v41, s[24:27], 0 offen offset:2048// 000000004430: E05C1800 80863029
	buffer_load_dwordx4 a[52:55], v41, s[24:27], 0 offen offset:3072// 000000004438: E05C1C00 80863429
	v_mfma_f32_16x16x128_f8f6f4 v[152:155], a[120:127], a[168:175], 0// 000000004440: D3AD0098 1A035178
	ds_read_b128 a[152:155], v2 offset:4736                    // 000000004448: DBFE1280 98000002
	ds_read_b128 a[156:159], v2 offset:4800                    // 000000004450: DBFE12C0 9C000002
	ds_read_b32 v24, v3 offset:9216                            // 000000004458: D86C2400 18000003
	v_mfma_f32_16x16x128_f8f6f4 v[156:159], a[120:127], a[184:191], 0// 000000004460: D3AD009C 1A037178
	buffer_load_dwordx4 a[56:59], v42, s[24:27], 0 offen offset:2048// 000000004468: E05C1800 8086382A
	buffer_load_dwordx4 a[60:63], v42, s[24:27], 0 offen offset:3072// 000000004470: E05C1C00 80863C2A
	v_mul_f32_dpp v52, v30, v27 row_newbcast:2 row_mask:0xf bank_mask:0xf// 000000004478: 0A6836FA FF01521E
	v_mov_b32_e32 v53, v52                                     // 000000004480: 7E6A0334
	v_pk_fma_f32 v[96:97], v[128:129], v[52:53], v[96:97]      // 000000004484: D3B04060 1D826980
	v_pk_fma_f32 v[98:99], v[130:131], v[52:53], v[98:99]      // 00000000448C: D3B04062 1D8A6982
	v_pk_fma_f32 v[104:105], v[136:137], v[52:53], v[104:105]  // 000000004494: D3B04068 1DA26988
	v_pk_fma_f32 v[106:107], v[138:139], v[52:53], v[106:107]  // 00000000449C: D3B0406A 1DAA698A
	v_mul_f32_dpp v52, v30, v27 row_newbcast:3 row_mask:0xf bank_mask:0xf// 0000000044A4: 0A6836FA FF01531E
	v_mov_b32_e32 v53, v52                                     // 0000000044AC: 7E6A0334
	v_pk_fma_f32 v[112:113], v[144:145], v[52:53], v[112:113]  // 0000000044B0: D3B04070 1DC26990
	v_pk_fma_f32 v[114:115], v[146:147], v[52:53], v[114:115]  // 0000000044B8: D3B04072 1DCA6992
	v_pk_fma_f32 v[120:121], v[152:153], v[52:53], v[120:121]  // 0000000044C0: D3B04078 1DE26998
	v_pk_fma_f32 v[122:123], v[154:155], v[52:53], v[122:123]  // 0000000044C8: D3B0407A 1DEA699A
	v_mul_f32_dpp v52, v30, v28 row_newbcast:2 row_mask:0xf bank_mask:0xf// 0000000044D0: 0A6838FA FF01521E
	v_mov_b32_e32 v53, v52                                     // 0000000044D8: 7E6A0334
	v_pk_fma_f32 v[100:101], v[132:133], v[52:53], v[100:101]  // 0000000044DC: D3B04064 1D926984
	v_pk_fma_f32 v[102:103], v[134:135], v[52:53], v[102:103]  // 0000000044E4: D3B04066 1D9A6986
	v_pk_fma_f32 v[108:109], v[140:141], v[52:53], v[108:109]  // 0000000044EC: D3B0406C 1DB2698C
	v_pk_fma_f32 v[110:111], v[142:143], v[52:53], v[110:111]  // 0000000044F4: D3B0406E 1DBA698E
	v_mul_f32_dpp v52, v30, v28 row_newbcast:3 row_mask:0xf bank_mask:0xf// 0000000044FC: 0A6838FA FF01531E
	v_mov_b32_e32 v53, v52                                     // 000000004504: 7E6A0334
	v_pk_fma_f32 v[116:117], v[148:149], v[52:53], v[116:117]  // 000000004508: D3B04074 1DD26994
	v_pk_fma_f32 v[118:119], v[150:151], v[52:53], v[118:119]  // 000000004510: D3B04076 1DDA6996
	v_pk_fma_f32 v[124:125], v[156:157], v[52:53], v[124:125]  // 000000004518: D3B0407C 1DF2699C
	v_pk_fma_f32 v[126:127], v[158:159], v[52:53], v[126:127]  // 000000004520: D3B0407E 1DFA699E
	s_add_u32 s56, 0x200, s76                                  // 000000004528: 80384CFF 00000200
	s_cmp_lt_u32 s56, s77                                      // 000000004530: BF0A4D38
	s_cselect_b32 s53, s53, 0                                  // 000000004534: 85358035
	s_cselect_b32 s3, s3, 0                                    // 000000004538: 85038003
	s_add_u32 s56, 0x200, s76                                  // 00000000453C: 80384CFF 00000200
	s_cmp_lt_u32 s56, s77                                      // 000000004544: BF0A4D38
	s_cselect_b32 s54, s54, 0                                  // 000000004548: 85368036
	s_add_u32 s20, s53, s20                                    // 00000000454C: 80141435
	s_addc_u32 s21, 0, s21                                     // 000000004550: 82151580
	s_add_u32 s28, s3, s28                                     // 000000004554: 801C1C03
	s_addc_u32 s29, 0, s29                                     // 000000004558: 821D1D80
	s_add_u32 s24, s54, s24                                    // 00000000455C: 80181836
	s_addc_u32 s25, 0, s25                                     // 000000004560: 82191980
	s_add_u32 s96, s94, s96                                    // 000000004564: 8060605E
	s_addc_u32 s97, 0, s97                                     // 000000004568: 82616180
	s_addk_i32 s76, 0x100                                      // 00000000456C: B74C0100
	s_cmp_lt_i32 s76, s77                                      // 000000004570: BF044D4C
	s_cbranch_scc0 label_05DF                                  // 000000004574: BF840001
	s_branch label_02EA                                        // 000000004578: BF82FD0B

000000000000457c <label_05DF>:
	s_mov_b32 s20, 0                                           // 00000000457C: BE940080
	s_cmp_lt_u32 s85, s62                                      // 000000004580: BF0A3E55
	s_cselect_b32 s56, 0, 1                                    // 000000004584: 85388180
	s_lshl1_add_u32 s20, s20, s56                              // 000000004588: 97143814
	s_cmp_lt_u32 s84, s62                                      // 00000000458C: BF0A3E54
	s_cselect_b32 s56, 0, 1                                    // 000000004590: 85388180
	s_lshl1_add_u32 s20, s20, s56                              // 000000004594: 97143814
	s_cmp_lt_u32 s83, s62                                      // 000000004598: BF0A3E53
	s_cselect_b32 s56, 0, 1                                    // 00000000459C: 85388180
	s_lshl1_add_u32 s20, s20, s56                              // 0000000045A0: 97143814
	s_cmp_lt_u32 s82, s62                                      // 0000000045A4: BF0A3E52
	s_cselect_b32 s56, 0, 1                                    // 0000000045A8: 85388180
	s_lshl1_add_u32 s20, s20, s56                              // 0000000045AC: 97143814
	s_cmp_lt_u32 s81, s62                                      // 0000000045B0: BF0A3E51
	s_cselect_b32 s56, 0, 1                                    // 0000000045B4: 85388180
	s_lshl1_add_u32 s20, s20, s56                              // 0000000045B8: 97143814
	s_cmp_lt_u32 s80, s62                                      // 0000000045BC: BF0A3E50
	s_cselect_b32 s56, 0, 1                                    // 0000000045C0: 85388180
	s_lshl1_add_u32 s20, s20, s56                              // 0000000045C4: 97143814
	s_cmp_lt_u32 s79, s62                                      // 0000000045C8: BF0A3E4F
	s_cselect_b32 s56, 0, 1                                    // 0000000045CC: 85388180
	s_lshl1_add_u32 s20, s20, s56                              // 0000000045D0: 97143814
	s_cmp_lt_u32 s78, s62                                      // 0000000045D4: BF0A3E4E
	s_cselect_b32 s56, 0, 1                                    // 0000000045D8: 85388180
	s_lshl1_add_u32 s20, s20, s56                              // 0000000045DC: 97143814
	s_waitcnt vmcnt(12)                                        // 0000000045E0: BF8C0F7C
	buffer_load_dwordx4 a[0:3], v43, s[12:15], 0 offen         // 0000000045E4: E05C1000 8083002B
	v_mul_f32_e64 v52, -v64, s6                                // 0000000045EC: D1050034 20000D40
	v_mul_f32_e64 v53, -v65, s6                                // 0000000045F4: D1050035 20000D41
	v_mul_f32_e64 v54, -v66, s6                                // 0000000045FC: D1050036 20000D42
	v_mul_f32_e64 v55, -v67, s6                                // 000000004604: D1050037 20000D43
	v_exp_f32_e32 v52, v52                                     // 00000000460C: 7E684134
	v_exp_f32_e32 v53, v53                                     // 000000004610: 7E6A4135
	v_exp_f32_e32 v54, v54                                     // 000000004614: 7E6C4136
	v_exp_f32_e32 v55, v55                                     // 000000004618: 7E6E4137
	buffer_load_dwordx4 a[4:7], v43, s[12:15], 0 offen offset:1024// 00000000461C: E05C1400 8083042B
	v_add_f32_e64 v52, v52, 1.0                                // 000000004624: D1010034 0001E534
	v_add_f32_e64 v53, v53, 1.0                                // 00000000462C: D1010035 0001E535
	v_add_f32_e64 v54, v54, 1.0                                // 000000004634: D1010036 0001E536
	v_add_f32_e64 v55, v55, 1.0                                // 00000000463C: D1010037 0001E537
	v_rcp_f32_e32 v52, v52                                     // 000000004644: 7E684534
	v_rcp_f32_e32 v53, v53                                     // 000000004648: 7E6A4535
	v_rcp_f32_e32 v54, v54                                     // 00000000464C: 7E6C4536
	v_rcp_f32_e32 v55, v55                                     // 000000004650: 7E6E4537
	v_mul_f32_e32 v64, v64, v52                                // 000000004654: 0A806940
	v_mul_f32_e32 v65, v65, v53                                // 000000004658: 0A826B41
	v_mul_f32_e32 v66, v66, v54                                // 00000000465C: 0A846D42
	v_mul_f32_e32 v67, v67, v55                                // 000000004660: 0A866F43
	v_mul_f32_e32 v64, v64, v96                                // 000000004664: 0A80C140
	v_mul_f32_e32 v65, v65, v97                                // 000000004668: 0A82C341
	v_mul_f32_e32 v66, v66, v98                                // 00000000466C: 0A84C542
	v_mul_f32_e32 v67, v67, v99                                // 000000004670: 0A86C743
	buffer_load_dwordx4 a[8:11], v44, s[12:15], 0 offen        // 000000004674: E05C1000 8083082C
	v_mul_f32_e64 v52, -v68, s6                                // 00000000467C: D1050034 20000D44
	v_mul_f32_e64 v53, -v69, s6                                // 000000004684: D1050035 20000D45
	v_mul_f32_e64 v54, -v70, s6                                // 00000000468C: D1050036 20000D46
	v_mul_f32_e64 v55, -v71, s6                                // 000000004694: D1050037 20000D47
	v_exp_f32_e32 v52, v52                                     // 00000000469C: 7E684134
	v_exp_f32_e32 v53, v53                                     // 0000000046A0: 7E6A4135
	v_exp_f32_e32 v54, v54                                     // 0000000046A4: 7E6C4136
	v_exp_f32_e32 v55, v55                                     // 0000000046A8: 7E6E4137
	buffer_load_dwordx4 a[12:15], v44, s[12:15], 0 offen offset:1024// 0000000046AC: E05C1400 80830C2C
	v_add_f32_e64 v52, v52, 1.0                                // 0000000046B4: D1010034 0001E534
	v_add_f32_e64 v53, v53, 1.0                                // 0000000046BC: D1010035 0001E535
	v_add_f32_e64 v54, v54, 1.0                                // 0000000046C4: D1010036 0001E536
	v_add_f32_e64 v55, v55, 1.0                                // 0000000046CC: D1010037 0001E537
	v_rcp_f32_e32 v52, v52                                     // 0000000046D4: 7E684534
	v_rcp_f32_e32 v53, v53                                     // 0000000046D8: 7E6A4535
	v_rcp_f32_e32 v54, v54                                     // 0000000046DC: 7E6C4536
	v_rcp_f32_e32 v55, v55                                     // 0000000046E0: 7E6E4537
	v_mul_f32_e32 v68, v68, v52                                // 0000000046E4: 0A886944
	v_mul_f32_e32 v69, v69, v53                                // 0000000046E8: 0A8A6B45
	v_mul_f32_e32 v70, v70, v54                                // 0000000046EC: 0A8C6D46
	v_mul_f32_e32 v71, v71, v55                                // 0000000046F0: 0A8E6F47
	v_mul_f32_e32 v68, v68, v100                               // 0000000046F4: 0A88C944
	v_mul_f32_e32 v69, v69, v101                               // 0000000046F8: 0A8ACB45
	v_mul_f32_e32 v70, v70, v102                               // 0000000046FC: 0A8CCD46
	v_mul_f32_e32 v71, v71, v103                               // 000000004700: 0A8ECF47
	s_waitcnt vmcnt(12)                                        // 000000004704: BF8C0F7C
	buffer_load_dwordx4 a[16:19], v45, s[12:15], 0 offen       // 000000004708: E05C1000 8083102D
	v_mul_f32_e64 v52, -v72, s6                                // 000000004710: D1050034 20000D48
	v_mul_f32_e64 v53, -v73, s6                                // 000000004718: D1050035 20000D49
	v_mul_f32_e64 v54, -v74, s6                                // 000000004720: D1050036 20000D4A
	v_mul_f32_e64 v55, -v75, s6                                // 000000004728: D1050037 20000D4B
	v_exp_f32_e32 v52, v52                                     // 000000004730: 7E684134
	v_exp_f32_e32 v53, v53                                     // 000000004734: 7E6A4135
	v_exp_f32_e32 v54, v54                                     // 000000004738: 7E6C4136
	v_exp_f32_e32 v55, v55                                     // 00000000473C: 7E6E4137
	buffer_load_dwordx4 a[20:23], v45, s[12:15], 0 offen offset:1024// 000000004740: E05C1400 8083142D
	v_add_f32_e64 v52, v52, 1.0                                // 000000004748: D1010034 0001E534
	v_add_f32_e64 v53, v53, 1.0                                // 000000004750: D1010035 0001E535
	v_add_f32_e64 v54, v54, 1.0                                // 000000004758: D1010036 0001E536
	v_add_f32_e64 v55, v55, 1.0                                // 000000004760: D1010037 0001E537
	v_rcp_f32_e32 v52, v52                                     // 000000004768: 7E684534
	v_rcp_f32_e32 v53, v53                                     // 00000000476C: 7E6A4535
	v_rcp_f32_e32 v54, v54                                     // 000000004770: 7E6C4536
	v_rcp_f32_e32 v55, v55                                     // 000000004774: 7E6E4537
	v_mul_f32_e32 v72, v72, v52                                // 000000004778: 0A906948
	v_mul_f32_e32 v73, v73, v53                                // 00000000477C: 0A926B49
	v_mul_f32_e32 v74, v74, v54                                // 000000004780: 0A946D4A
	v_mul_f32_e32 v75, v75, v55                                // 000000004784: 0A966F4B
	v_mul_f32_e32 v72, v72, v104                               // 000000004788: 0A90D148
	v_mul_f32_e32 v73, v73, v105                               // 00000000478C: 0A92D349
	v_mul_f32_e32 v74, v74, v106                               // 000000004790: 0A94D54A
	v_mul_f32_e32 v75, v75, v107                               // 000000004794: 0A96D74B
	buffer_load_dwordx4 a[24:27], v46, s[12:15], 0 offen       // 000000004798: E05C1000 8083182E
	v_mul_f32_e64 v52, -v76, s6                                // 0000000047A0: D1050034 20000D4C
	v_mul_f32_e64 v53, -v77, s6                                // 0000000047A8: D1050035 20000D4D
	v_mul_f32_e64 v54, -v78, s6                                // 0000000047B0: D1050036 20000D4E
	v_mul_f32_e64 v55, -v79, s6                                // 0000000047B8: D1050037 20000D4F
	v_exp_f32_e32 v52, v52                                     // 0000000047C0: 7E684134
	v_exp_f32_e32 v53, v53                                     // 0000000047C4: 7E6A4135
	v_exp_f32_e32 v54, v54                                     // 0000000047C8: 7E6C4136
	v_exp_f32_e32 v55, v55                                     // 0000000047CC: 7E6E4137
	buffer_load_dwordx4 a[28:31], v46, s[12:15], 0 offen offset:1024// 0000000047D0: E05C1400 80831C2E
	s_add_u32 s12, s74, s12                                    // 0000000047D8: 800C0C4A
	s_addc_u32 s13, 0, s13                                     // 0000000047DC: 820D0D80
	v_add_f32_e64 v52, v52, 1.0                                // 0000000047E0: D1010034 0001E534
	v_add_f32_e64 v53, v53, 1.0                                // 0000000047E8: D1010035 0001E535
	v_add_f32_e64 v54, v54, 1.0                                // 0000000047F0: D1010036 0001E536
	v_add_f32_e64 v55, v55, 1.0                                // 0000000047F8: D1010037 0001E537
	v_rcp_f32_e32 v52, v52                                     // 000000004800: 7E684534
	v_rcp_f32_e32 v53, v53                                     // 000000004804: 7E6A4535
	v_rcp_f32_e32 v54, v54                                     // 000000004808: 7E6C4536
	v_rcp_f32_e32 v55, v55                                     // 00000000480C: 7E6E4537
	v_mul_f32_e32 v76, v76, v52                                // 000000004810: 0A98694C
	v_mul_f32_e32 v77, v77, v53                                // 000000004814: 0A9A6B4D
	v_mul_f32_e32 v78, v78, v54                                // 000000004818: 0A9C6D4E
	v_mul_f32_e32 v79, v79, v55                                // 00000000481C: 0A9E6F4F
	v_mul_f32_e32 v76, v76, v108                               // 000000004820: 0A98D94C
	v_mul_f32_e32 v77, v77, v109                               // 000000004824: 0A9ADB4D
	v_mul_f32_e32 v78, v78, v110                               // 000000004828: 0A9CDD4E
	v_mul_f32_e32 v79, v79, v111                               // 00000000482C: 0A9EDF4F
	s_waitcnt vmcnt(12)                                        // 000000004830: BF8C0F7C
	buffer_load_dwordx4 a[32:35], v43, s[12:15], 0 offen       // 000000004834: E05C1000 8083202B
	v_mul_f32_e64 v52, -v80, s6                                // 00000000483C: D1050034 20000D50
	v_mul_f32_e64 v53, -v81, s6                                // 000000004844: D1050035 20000D51
	v_mul_f32_e64 v54, -v82, s6                                // 00000000484C: D1050036 20000D52
	v_mul_f32_e64 v55, -v83, s6                                // 000000004854: D1050037 20000D53
	v_exp_f32_e32 v52, v52                                     // 00000000485C: 7E684134
	v_exp_f32_e32 v53, v53                                     // 000000004860: 7E6A4135
	v_exp_f32_e32 v54, v54                                     // 000000004864: 7E6C4136
	v_exp_f32_e32 v55, v55                                     // 000000004868: 7E6E4137
	buffer_load_dwordx4 a[36:39], v43, s[12:15], 0 offen offset:1024// 00000000486C: E05C1400 8083242B
	v_add_f32_e64 v52, v52, 1.0                                // 000000004874: D1010034 0001E534
	v_add_f32_e64 v53, v53, 1.0                                // 00000000487C: D1010035 0001E535
	v_add_f32_e64 v54, v54, 1.0                                // 000000004884: D1010036 0001E536
	v_add_f32_e64 v55, v55, 1.0                                // 00000000488C: D1010037 0001E537
	v_rcp_f32_e32 v52, v52                                     // 000000004894: 7E684534
	v_rcp_f32_e32 v53, v53                                     // 000000004898: 7E6A4535
	v_rcp_f32_e32 v54, v54                                     // 00000000489C: 7E6C4536
	v_rcp_f32_e32 v55, v55                                     // 0000000048A0: 7E6E4537
	v_mul_f32_e32 v80, v80, v52                                // 0000000048A4: 0AA06950
	v_mul_f32_e32 v81, v81, v53                                // 0000000048A8: 0AA26B51
	v_mul_f32_e32 v82, v82, v54                                // 0000000048AC: 0AA46D52
	v_mul_f32_e32 v83, v83, v55                                // 0000000048B0: 0AA66F53
	v_mul_f32_e32 v80, v80, v112                               // 0000000048B4: 0AA0E150
	v_mul_f32_e32 v81, v81, v113                               // 0000000048B8: 0AA2E351
	v_mul_f32_e32 v82, v82, v114                               // 0000000048BC: 0AA4E552
	v_mul_f32_e32 v83, v83, v115                               // 0000000048C0: 0AA6E753
	buffer_load_dwordx4 a[40:43], v44, s[12:15], 0 offen       // 0000000048C4: E05C1000 8083282C
	v_mul_f32_e64 v52, -v84, s6                                // 0000000048CC: D1050034 20000D54
	v_mul_f32_e64 v53, -v85, s6                                // 0000000048D4: D1050035 20000D55
	v_mul_f32_e64 v54, -v86, s6                                // 0000000048DC: D1050036 20000D56
	v_mul_f32_e64 v55, -v87, s6                                // 0000000048E4: D1050037 20000D57
	v_exp_f32_e32 v52, v52                                     // 0000000048EC: 7E684134
	v_exp_f32_e32 v53, v53                                     // 0000000048F0: 7E6A4135
	v_exp_f32_e32 v54, v54                                     // 0000000048F4: 7E6C4136
	v_exp_f32_e32 v55, v55                                     // 0000000048F8: 7E6E4137
	buffer_load_dwordx4 a[44:47], v44, s[12:15], 0 offen offset:1024// 0000000048FC: E05C1400 80832C2C
	v_add_f32_e64 v52, v52, 1.0                                // 000000004904: D1010034 0001E534
	v_add_f32_e64 v53, v53, 1.0                                // 00000000490C: D1010035 0001E535
	v_add_f32_e64 v54, v54, 1.0                                // 000000004914: D1010036 0001E536
	v_add_f32_e64 v55, v55, 1.0                                // 00000000491C: D1010037 0001E537
	v_rcp_f32_e32 v52, v52                                     // 000000004924: 7E684534
	v_rcp_f32_e32 v53, v53                                     // 000000004928: 7E6A4535
	v_rcp_f32_e32 v54, v54                                     // 00000000492C: 7E6C4536
	v_rcp_f32_e32 v55, v55                                     // 000000004930: 7E6E4537
	v_mul_f32_e32 v84, v84, v52                                // 000000004934: 0AA86954
	v_mul_f32_e32 v85, v85, v53                                // 000000004938: 0AAA6B55
	v_mul_f32_e32 v86, v86, v54                                // 00000000493C: 0AAC6D56
	v_mul_f32_e32 v87, v87, v55                                // 000000004940: 0AAE6F57
	v_mul_f32_e32 v84, v84, v116                               // 000000004944: 0AA8E954
	v_mul_f32_e32 v85, v85, v117                               // 000000004948: 0AAAEB55
	v_mul_f32_e32 v86, v86, v118                               // 00000000494C: 0AACED56
	v_mul_f32_e32 v87, v87, v119                               // 000000004950: 0AAEEF57
	s_waitcnt vmcnt(12)                                        // 000000004954: BF8C0F7C
	buffer_load_dwordx4 a[48:51], v45, s[12:15], 0 offen       // 000000004958: E05C1000 8083302D
	v_mul_f32_e64 v52, -v88, s6                                // 000000004960: D1050034 20000D58
	v_mul_f32_e64 v53, -v89, s6                                // 000000004968: D1050035 20000D59
	v_mul_f32_e64 v54, -v90, s6                                // 000000004970: D1050036 20000D5A
	v_mul_f32_e64 v55, -v91, s6                                // 000000004978: D1050037 20000D5B
	v_exp_f32_e32 v52, v52                                     // 000000004980: 7E684134
	v_exp_f32_e32 v53, v53                                     // 000000004984: 7E6A4135
	v_exp_f32_e32 v54, v54                                     // 000000004988: 7E6C4136
	v_exp_f32_e32 v55, v55                                     // 00000000498C: 7E6E4137
	buffer_load_dwordx4 a[52:55], v45, s[12:15], 0 offen offset:1024// 000000004990: E05C1400 8083342D
	v_add_f32_e64 v52, v52, 1.0                                // 000000004998: D1010034 0001E534
	v_add_f32_e64 v53, v53, 1.0                                // 0000000049A0: D1010035 0001E535
	v_add_f32_e64 v54, v54, 1.0                                // 0000000049A8: D1010036 0001E536
	v_add_f32_e64 v55, v55, 1.0                                // 0000000049B0: D1010037 0001E537
	v_rcp_f32_e32 v52, v52                                     // 0000000049B8: 7E684534
	v_rcp_f32_e32 v53, v53                                     // 0000000049BC: 7E6A4535
	v_rcp_f32_e32 v54, v54                                     // 0000000049C0: 7E6C4536
	v_rcp_f32_e32 v55, v55                                     // 0000000049C4: 7E6E4537
	v_mul_f32_e32 v88, v88, v52                                // 0000000049C8: 0AB06958
	v_mul_f32_e32 v89, v89, v53                                // 0000000049CC: 0AB26B59
	v_mul_f32_e32 v90, v90, v54                                // 0000000049D0: 0AB46D5A
	v_mul_f32_e32 v91, v91, v55                                // 0000000049D4: 0AB66F5B
	v_mul_f32_e32 v88, v88, v120                               // 0000000049D8: 0AB0F158
	v_mul_f32_e32 v89, v89, v121                               // 0000000049DC: 0AB2F359
	v_mul_f32_e32 v90, v90, v122                               // 0000000049E0: 0AB4F55A
	v_mul_f32_e32 v91, v91, v123                               // 0000000049E4: 0AB6F75B
	buffer_load_dwordx4 a[56:59], v46, s[12:15], 0 offen       // 0000000049E8: E05C1000 8083382E
	v_mul_f32_e64 v52, -v92, s6                                // 0000000049F0: D1050034 20000D5C
	v_mul_f32_e64 v53, -v93, s6                                // 0000000049F8: D1050035 20000D5D
	v_mul_f32_e64 v54, -v94, s6                                // 000000004A00: D1050036 20000D5E
	v_mul_f32_e64 v55, -v95, s6                                // 000000004A08: D1050037 20000D5F
	v_exp_f32_e32 v52, v52                                     // 000000004A10: 7E684134
	v_exp_f32_e32 v53, v53                                     // 000000004A14: 7E6A4135
	v_exp_f32_e32 v54, v54                                     // 000000004A18: 7E6C4136
	v_exp_f32_e32 v55, v55                                     // 000000004A1C: 7E6E4137
	buffer_load_dwordx4 a[60:63], v46, s[12:15], 0 offen offset:1024// 000000004A20: E05C1400 80833C2E
	v_add_f32_e64 v52, v52, 1.0                                // 000000004A28: D1010034 0001E534
	v_add_f32_e64 v53, v53, 1.0                                // 000000004A30: D1010035 0001E535
	v_add_f32_e64 v54, v54, 1.0                                // 000000004A38: D1010036 0001E536
	v_add_f32_e64 v55, v55, 1.0                                // 000000004A40: D1010037 0001E537
	v_rcp_f32_e32 v52, v52                                     // 000000004A48: 7E684534
	v_rcp_f32_e32 v53, v53                                     // 000000004A4C: 7E6A4535
	v_rcp_f32_e32 v54, v54                                     // 000000004A50: 7E6C4536
	v_rcp_f32_e32 v55, v55                                     // 000000004A54: 7E6E4537
	v_mul_f32_e32 v92, v92, v52                                // 000000004A58: 0AB8695C
	v_mul_f32_e32 v93, v93, v53                                // 000000004A5C: 0ABA6B5D
	v_mul_f32_e32 v94, v94, v54                                // 000000004A60: 0ABC6D5E
	v_mul_f32_e32 v95, v95, v55                                // 000000004A64: 0ABE6F5F
	v_mul_f32_e32 v92, v92, v124                               // 000000004A68: 0AB8F95C
	v_mul_f32_e32 v93, v93, v125                               // 000000004A6C: 0ABAFB5D
	v_mul_f32_e32 v94, v94, v126                               // 000000004A70: 0ABCFD5E
	v_mul_f32_e32 v95, v95, v127                               // 000000004A74: 0ABEFF5F
	buffer_load_dword v29, v8, s[16:19], 0 offen               // 000000004A78: E0501000 80041D08
	v_mov_b32_e32 v128, 0x358637bd                             // 000000004A80: 7F0002FF 358637BD
	v_mov_b32_e32 v129, 0x358637bd                             // 000000004A88: 7F0202FF 358637BD
	v_max3_f32 v128, |v64|, |v65|, v128                        // 000000004A90: D1D30380 06028340
	v_max3_f32 v128, |v66|, |v67|, v128                        // 000000004A98: D1D30380 06028742
	v_max3_f32 v129, |v68|, |v69|, v129                        // 000000004AA0: D1D30381 06068B44
	v_max3_f32 v129, |v70|, |v71|, v129                        // 000000004AA8: D1D30381 06068F46
	v_max3_f32 v128, |v72|, |v73|, v128                        // 000000004AB0: D1D30380 06029348
	v_max3_f32 v128, |v74|, |v75|, v128                        // 000000004AB8: D1D30380 0602974A
	v_max3_f32 v129, |v76|, |v77|, v129                        // 000000004AC0: D1D30381 06069B4C
	v_max3_f32 v129, |v78|, |v79|, v129                        // 000000004AC8: D1D30381 06069F4E
	v_mov_b32_e32 v52, v128                                    // 000000004AD0: 7E680380
	s_nop 1                                                    // 000000004AD4: BF800001
	v_permlane32_swap_b32_e32 v52, v128                        // 000000004AD8: 7E68B580
	v_max_f32_e32 v128, v52, v128                              // 000000004ADC: 17010134
	v_mov_b32_e32 v52, v128                                    // 000000004AE0: 7E680380
	s_nop 1                                                    // 000000004AE4: BF800001
	v_permlane16_swap_b32_e32 v52, v128                        // 000000004AE8: 7E68B380
	v_max_f32_e32 v128, v52, v128                              // 000000004AEC: 17010134
	v_mov_b32_e32 v52, v129                                    // 000000004AF0: 7E680381
	s_nop 1                                                    // 000000004AF4: BF800001
	v_permlane32_swap_b32_e32 v52, v129                        // 000000004AF8: 7E68B581
	v_max_f32_e32 v129, v52, v129                              // 000000004AFC: 17030334
	v_mov_b32_e32 v52, v129                                    // 000000004B00: 7E680381
	s_nop 1                                                    // 000000004B04: BF800001
	v_permlane16_swap_b32_e32 v52, v129                        // 000000004B08: 7E68B381
	v_max_f32_e32 v129, v52, v129                              // 000000004B0C: 17030334
	v_lshlrev_b32_e32 v52, 2, v0                               // 000000004B10: 24680082
	s_mul_i32 s56, 64, s7                                      // 000000004B14: 923807C0
	v_add_u32_e32 v52, s56, v52                                // 000000004B18: 68686838
	s_mov_b32 s56, 0xffff                                      // 000000004B1C: BEB800FF 0000FFFF
	s_mov_b32 s57, 0                                           // 000000004B24: BEB90080
	s_mov_b64 exec, s[56:57]                                   // 000000004B28: BEFE0138
	ds_write_b32 v52, v128 offset:18944                        // 000000004B2C: D81A4A00 00008034
	ds_write_b32 v52, v129 offset:19200                        // 000000004B34: D81A4B00 00008134
	s_mov_b32 s56, -1                                          // 000000004B3C: BEB800C1
	s_mov_b32 s57, -1                                          // 000000004B40: BEB900C1
	s_mov_b64 exec, s[56:57]                                   // 000000004B44: BEFE0138
	s_waitcnt lgkmcnt(0)                                       // 000000004B48: BF8CC07F
	s_barrier                                                  // 000000004B4C: BF8A0000
	v_lshlrev_b32_e32 v52, 2, v0                               // 000000004B50: 24680082
	ds_read_b32 v254, v52 offset:18944                         // 000000004B54: D86C4A00 FE000034
	ds_read_b32 v255, v52 offset:19200                         // 000000004B5C: D86C4B00 FF000034
	s_waitcnt lgkmcnt(0)                                       // 000000004B64: BF8CC07F
	v_mov_b32_e32 v52, v254                                    // 000000004B68: 7E6803FE
	s_nop 1                                                    // 000000004B6C: BF800001
	v_permlane32_swap_b32_e32 v52, v254                        // 000000004B70: 7E68B5FE
	v_max_f32_e32 v254, v52, v254                              // 000000004B74: 17FDFD34
	v_mov_b32_e32 v52, v254                                    // 000000004B78: 7E6803FE
	s_nop 1                                                    // 000000004B7C: BF800001
	v_permlane16_swap_b32_e32 v52, v254                        // 000000004B80: 7E68B3FE
	v_max_f32_e32 v254, v52, v254                              // 000000004B84: 17FDFD34
	v_mov_b32_e32 v52, v255                                    // 000000004B88: 7E6803FF
	s_nop 1                                                    // 000000004B8C: BF800001
	v_permlane32_swap_b32_e32 v52, v255                        // 000000004B90: 7E68B5FF
	v_max_f32_e32 v255, v52, v255                              // 000000004B94: 17FFFF34
	v_mov_b32_e32 v52, v255                                    // 000000004B98: 7E6803FF
	s_nop 1                                                    // 000000004B9C: BF800001
	v_permlane16_swap_b32_e32 v52, v255                        // 000000004BA0: 7E68B3FF
	v_max_f32_e32 v255, v52, v255                              // 000000004BA4: 17FFFF34
	v_max_f32_e32 v128, v254, v128                             // 000000004BA8: 170101FE
	v_max_f32_e32 v129, v255, v129                             // 000000004BAC: 170303FF
	v_rcp_f32_e32 v128, v128                                   // 000000004BB0: 7F004580
	v_rcp_f32_e32 v129, v129                                   // 000000004BB4: 7F024581
	v_mov_b32_e32 v52, 0x43e00000                              // 000000004BB8: 7E6802FF 43E00000
	v_mul_f32_e32 v128, v52, v128                              // 000000004BC0: 0B010134
	v_mul_f32_e32 v129, v52, v129                              // 000000004BC4: 0B030334
	v_mul_f32_e32 v64, v128, v64                               // 000000004BC8: 0A808180
	v_mul_f32_e32 v65, v128, v65                               // 000000004BCC: 0A828380
	v_mul_f32_e32 v66, v128, v66                               // 000000004BD0: 0A848580
	v_mul_f32_e32 v67, v128, v67                               // 000000004BD4: 0A868780
	v_cvt_pk_fp8_f32 v64, v64, v65                             // 000000004BD8: D2A20040 00028340
	v_cvt_pk_fp8_f32 v64, v66, v67 op_sel:[0,0,1]              // 000000004BE0: D2A24040 00028742
	v_mul_f32_e32 v68, v129, v68                               // 000000004BE8: 0A888981
	v_mul_f32_e32 v69, v129, v69                               // 000000004BEC: 0A8A8B81
	v_mul_f32_e32 v70, v129, v70                               // 000000004BF0: 0A8C8D81
	v_mul_f32_e32 v71, v129, v71                               // 000000004BF4: 0A8E8F81
	v_cvt_pk_fp8_f32 v65, v68, v69                             // 000000004BF8: D2A20041 00028B44
	v_cvt_pk_fp8_f32 v65, v70, v71 op_sel:[0,0,1]              // 000000004C00: D2A24041 00028F46
	v_mul_f32_e32 v72, v128, v72                               // 000000004C08: 0A909180
	v_mul_f32_e32 v73, v128, v73                               // 000000004C0C: 0A929380
	v_mul_f32_e32 v74, v128, v74                               // 000000004C10: 0A949580
	v_mul_f32_e32 v75, v128, v75                               // 000000004C14: 0A969780
	v_cvt_pk_fp8_f32 v66, v72, v73                             // 000000004C18: D2A20042 00029348
	v_cvt_pk_fp8_f32 v66, v74, v75 op_sel:[0,0,1]              // 000000004C20: D2A24042 0002974A
	v_mul_f32_e32 v76, v129, v76                               // 000000004C28: 0A989981
	v_mul_f32_e32 v77, v129, v77                               // 000000004C2C: 0A9A9B81
	v_mul_f32_e32 v78, v129, v78                               // 000000004C30: 0A9C9D81
	v_mul_f32_e32 v79, v129, v79                               // 000000004C34: 0A9E9F81
	v_cvt_pk_fp8_f32 v67, v76, v77                             // 000000004C38: D2A20043 00029B4C
	v_cvt_pk_fp8_f32 v67, v78, v79 op_sel:[0,0,1]              // 000000004C40: D2A24043 00029F4E
	v_rcp_f32_e32 v21, v128                                    // 000000004C48: 7E2A4580
	v_rcp_f32_e32 v22, v129                                    // 000000004C4C: 7E2C4581
	v_mov_b32_e32 v130, 0x358637bd                             // 000000004C50: 7F0402FF 358637BD
	v_mov_b32_e32 v131, 0x358637bd                             // 000000004C58: 7F0602FF 358637BD
	v_max3_f32 v130, |v80|, |v81|, v130                        // 000000004C60: D1D30382 060AA350
	v_max3_f32 v130, |v82|, |v83|, v130                        // 000000004C68: D1D30382 060AA752
	v_max3_f32 v131, |v84|, |v85|, v131                        // 000000004C70: D1D30383 060EAB54
	v_max3_f32 v131, |v86|, |v87|, v131                        // 000000004C78: D1D30383 060EAF56
	v_max3_f32 v130, |v88|, |v89|, v130                        // 000000004C80: D1D30382 060AB358
	v_max3_f32 v130, |v90|, |v91|, v130                        // 000000004C88: D1D30382 060AB75A
	v_max3_f32 v131, |v92|, |v93|, v131                        // 000000004C90: D1D30383 060EBB5C
	v_max3_f32 v131, |v94|, |v95|, v131                        // 000000004C98: D1D30383 060EBF5E
	v_mov_b32_e32 v52, v130                                    // 000000004CA0: 7E680382
	s_nop 1                                                    // 000000004CA4: BF800001
	v_permlane32_swap_b32_e32 v52, v130                        // 000000004CA8: 7E68B582
	v_max_f32_e32 v130, v52, v130                              // 000000004CAC: 17050534
	v_mov_b32_e32 v52, v130                                    // 000000004CB0: 7E680382
	s_nop 1                                                    // 000000004CB4: BF800001
	v_permlane16_swap_b32_e32 v52, v130                        // 000000004CB8: 7E68B382
	v_max_f32_e32 v130, v52, v130                              // 000000004CBC: 17050534
	v_mov_b32_e32 v52, v131                                    // 000000004CC0: 7E680383
	s_nop 1                                                    // 000000004CC4: BF800001
	v_permlane32_swap_b32_e32 v52, v131                        // 000000004CC8: 7E68B583
	v_max_f32_e32 v131, v52, v131                              // 000000004CCC: 17070734
	v_mov_b32_e32 v52, v131                                    // 000000004CD0: 7E680383
	s_nop 1                                                    // 000000004CD4: BF800001
	v_permlane16_swap_b32_e32 v52, v131                        // 000000004CD8: 7E68B383
	v_max_f32_e32 v131, v52, v131                              // 000000004CDC: 17070734
	v_lshlrev_b32_e32 v52, 2, v0                               // 000000004CE0: 24680082
	s_mul_i32 s56, 64, s7                                      // 000000004CE4: 923807C0
	v_add_u32_e32 v52, s56, v52                                // 000000004CE8: 68686838
	s_mov_b32 s56, 0xffff                                      // 000000004CEC: BEB800FF 0000FFFF
	s_mov_b32 s57, 0                                           // 000000004CF4: BEB90080
	s_mov_b64 exec, s[56:57]                                   // 000000004CF8: BEFE0138
	ds_write_b32 v52, v130 offset:18944                        // 000000004CFC: D81A4A00 00008234
	ds_write_b32 v52, v131 offset:19200                        // 000000004D04: D81A4B00 00008334
	s_mov_b32 s56, -1                                          // 000000004D0C: BEB800C1
	s_mov_b32 s57, -1                                          // 000000004D10: BEB900C1
	s_mov_b64 exec, s[56:57]                                   // 000000004D14: BEFE0138
	s_waitcnt lgkmcnt(0)                                       // 000000004D18: BF8CC07F
	s_barrier                                                  // 000000004D1C: BF8A0000
	v_lshlrev_b32_e32 v52, 2, v0                               // 000000004D20: 24680082
	ds_read_b32 v254, v52 offset:18944                         // 000000004D24: D86C4A00 FE000034
	ds_read_b32 v255, v52 offset:19200                         // 000000004D2C: D86C4B00 FF000034
	s_waitcnt lgkmcnt(0)                                       // 000000004D34: BF8CC07F
	v_mov_b32_e32 v52, v254                                    // 000000004D38: 7E6803FE
	s_nop 1                                                    // 000000004D3C: BF800001
	v_permlane32_swap_b32_e32 v52, v254                        // 000000004D40: 7E68B5FE
	v_max_f32_e32 v254, v52, v254                              // 000000004D44: 17FDFD34
	v_mov_b32_e32 v52, v254                                    // 000000004D48: 7E6803FE
	s_nop 1                                                    // 000000004D4C: BF800001
	v_permlane16_swap_b32_e32 v52, v254                        // 000000004D50: 7E68B3FE
	v_max_f32_e32 v254, v52, v254                              // 000000004D54: 17FDFD34
	v_mov_b32_e32 v52, v255                                    // 000000004D58: 7E6803FF
	s_nop 1                                                    // 000000004D5C: BF800001
	v_permlane32_swap_b32_e32 v52, v255                        // 000000004D60: 7E68B5FF
	v_max_f32_e32 v255, v52, v255                              // 000000004D64: 17FFFF34
	v_mov_b32_e32 v52, v255                                    // 000000004D68: 7E6803FF
	s_nop 1                                                    // 000000004D6C: BF800001
	v_permlane16_swap_b32_e32 v52, v255                        // 000000004D70: 7E68B3FF
	v_max_f32_e32 v255, v52, v255                              // 000000004D74: 17FFFF34
	v_max_f32_e32 v130, v254, v130                             // 000000004D78: 170505FE
	v_max_f32_e32 v131, v255, v131                             // 000000004D7C: 170707FF
	v_rcp_f32_e32 v130, v130                                   // 000000004D80: 7F044582
	v_rcp_f32_e32 v131, v131                                   // 000000004D84: 7F064583
	v_mov_b32_e32 v52, 0x43e00000                              // 000000004D88: 7E6802FF 43E00000
	v_mul_f32_e32 v130, v52, v130                              // 000000004D90: 0B050534
	v_mul_f32_e32 v131, v52, v131                              // 000000004D94: 0B070734
	v_mul_f32_e32 v80, v130, v80                               // 000000004D98: 0AA0A182
	v_mul_f32_e32 v81, v130, v81                               // 000000004D9C: 0AA2A382
	v_mul_f32_e32 v82, v130, v82                               // 000000004DA0: 0AA4A582
	v_mul_f32_e32 v83, v130, v83                               // 000000004DA4: 0AA6A782
	v_cvt_pk_fp8_f32 v68, v80, v81                             // 000000004DA8: D2A20044 0002A350
	v_cvt_pk_fp8_f32 v68, v82, v83 op_sel:[0,0,1]              // 000000004DB0: D2A24044 0002A752
	v_mul_f32_e32 v84, v131, v84                               // 000000004DB8: 0AA8A983
	v_mul_f32_e32 v85, v131, v85                               // 000000004DBC: 0AAAAB83
	v_mul_f32_e32 v86, v131, v86                               // 000000004DC0: 0AACAD83
	v_mul_f32_e32 v87, v131, v87                               // 000000004DC4: 0AAEAF83
	v_cvt_pk_fp8_f32 v69, v84, v85                             // 000000004DC8: D2A20045 0002AB54
	v_cvt_pk_fp8_f32 v69, v86, v87 op_sel:[0,0,1]              // 000000004DD0: D2A24045 0002AF56
	v_mul_f32_e32 v88, v130, v88                               // 000000004DD8: 0AB0B182
	v_mul_f32_e32 v89, v130, v89                               // 000000004DDC: 0AB2B382
	v_mul_f32_e32 v90, v130, v90                               // 000000004DE0: 0AB4B582
	v_mul_f32_e32 v91, v130, v91                               // 000000004DE4: 0AB6B782
	v_cvt_pk_fp8_f32 v70, v88, v89                             // 000000004DE8: D2A20046 0002B358
	v_cvt_pk_fp8_f32 v70, v90, v91 op_sel:[0,0,1]              // 000000004DF0: D2A24046 0002B75A
	v_mul_f32_e32 v92, v131, v92                               // 000000004DF8: 0AB8B983
	v_mul_f32_e32 v93, v131, v93                               // 000000004DFC: 0ABABB83
	v_mul_f32_e32 v94, v131, v94                               // 000000004E00: 0ABCBD83
	v_mul_f32_e32 v95, v131, v95                               // 000000004E04: 0ABEBF83
	v_cvt_pk_fp8_f32 v71, v92, v93                             // 000000004E08: D2A20047 0002BB5C
	v_cvt_pk_fp8_f32 v71, v94, v95 op_sel:[0,0,1]              // 000000004E10: D2A24047 0002BF5E
	v_rcp_f32_e32 v23, v130                                    // 000000004E18: 7E2E4582
	v_rcp_f32_e32 v24, v131                                    // 000000004E1C: 7E304583
	v_lshrrev_b32_e32 v52, 5, v0                               // 000000004E20: 20680085
	v_lshlrev_b32_e32 v53, 6, v52                              // 000000004E24: 246A6886
	v_and_b32_e32 v52, 31, v0                                  // 000000004E28: 2668009F
	v_lshrrev_b32_e32 v54, 4, v52                              // 000000004E2C: 206C6884
	v_add_u32_e32 v53, v54, v53                                // 000000004E30: 686A6B36
	v_and_b32_e32 v52, 15, v0                                  // 000000004E34: 2668008F
	v_lshlrev_b32_e32 v52, 1, v52                              // 000000004E38: 24686881
	v_add_u32_e32 v53, v52, v53                                // 000000004E3C: 686A6B34
	v_lshlrev_b32_e32 v52, 2, v53                              // 000000004E40: 24686A82
	s_mov_b32 s56, 0                                           // 000000004E44: BEB80080
	s_lshr_b32 s57, s7, 1                                      // 000000004E48: 8F398107
	s_mul_i32 s57, s57, 0x200                                  // 000000004E4C: 9239FF39 00000200
	s_add_u32 s56, s57, s56                                    // 000000004E54: 80383839
	s_and_b32 s57, s7, 1                                       // 000000004E58: 86398107
	s_mul_i32 s57, s57, 0x80                                   // 000000004E5C: 9239FF39 00000080
	s_add_u32 s56, s57, s56                                    // 000000004E64: 80383839
	v_add_u32_e64 v52, v52, s56                                // 000000004E68: D1340034 00007134
	ds_write_b32 v52, v64 offset:20992                         // 000000004E70: D81A5200 00004034
	ds_write_b32 v52, v65 offset:25088                         // 000000004E78: D81A6200 00004134
	ds_write_b32 v52, v66 offset:22016                         // 000000004E80: D81A5600 00004234
	ds_write_b32 v52, v67 offset:26112                         // 000000004E88: D81A6600 00004334
	ds_write_b32 v52, v68 offset:23040                         // 000000004E90: D81A5A00 00004434
	ds_write_b32 v52, v69 offset:27136                         // 000000004E98: D81A6A00 00004534
	ds_write_b32 v52, v70 offset:24064                         // 000000004EA0: D81A5E00 00004634
	ds_write_b32 v52, v71 offset:28160                         // 000000004EA8: D81A6E00 00004734
	s_waitcnt lgkmcnt(0)                                       // 000000004EB0: BF8CC07F
	s_barrier                                                  // 000000004EB4: BF8A0000
	v_and_b32_e32 v52, 31, v0                                  // 000000004EB8: 2668009F
	v_lshrrev_b32_e32 v52, 4, v52                              // 000000004EBC: 20686884
	v_lshlrev_b32_e32 v53, 5, v52                              // 000000004EC0: 246A6885
	v_lshrrev_b32_e32 v52, 5, v0                               // 000000004EC4: 20680085
	v_lshlrev_b32_e32 v52, 7, v52                              // 000000004EC8: 24686887
	v_add_u32_e32 v53, v52, v53                                // 000000004ECC: 686A6B34
	v_and_b32_e32 v52, 15, v0                                  // 000000004ED0: 2668008F
	v_lshlrev_b32_e32 v52, 1, v52                              // 000000004ED4: 24686881
	v_add_u32_e32 v53, v52, v53                                // 000000004ED8: 686A6B34
	v_lshlrev_b32_e32 v52, 2, v53                              // 000000004EDC: 24686A82
	ds_read_b64 a[128:129], v52 offset:20992                   // 000000004EE0: DAEC5200 80000034
	ds_read_b64 a[130:131], v52 offset:21248                   // 000000004EE8: DAEC5300 82000034
	ds_read_b64 a[132:133], v52 offset:22016                   // 000000004EF0: DAEC5600 84000034
	ds_read_b64 a[134:135], v52 offset:22272                   // 000000004EF8: DAEC5700 86000034
	ds_read_b64 a[136:137], v52 offset:23040                   // 000000004F00: DAEC5A00 88000034
	ds_read_b64 a[138:139], v52 offset:23296                   // 000000004F08: DAEC5B00 8A000034
	ds_read_b64 a[140:141], v52 offset:24064                   // 000000004F10: DAEC5E00 8C000034
	ds_read_b64 a[142:143], v52 offset:24320                   // 000000004F18: DAEC5F00 8E000034
	ds_read_b64 a[144:145], v52 offset:25088                   // 000000004F20: DAEC6200 90000034
	ds_read_b64 a[146:147], v52 offset:25344                   // 000000004F28: DAEC6300 92000034
	ds_read_b64 a[148:149], v52 offset:26112                   // 000000004F30: DAEC6600 94000034
	ds_read_b64 a[150:151], v52 offset:26368                   // 000000004F38: DAEC6700 96000034
	ds_read_b64 a[152:153], v52 offset:27136                   // 000000004F40: DAEC6A00 98000034
	ds_read_b64 a[154:155], v52 offset:27392                   // 000000004F48: DAEC6B00 9A000034
	ds_read_b64 a[156:157], v52 offset:28160                   // 000000004F50: DAEC6E00 9C000034
	ds_read_b64 a[158:159], v52 offset:28416                   // 000000004F58: DAEC6F00 9E000034
	v_lshlrev_b32_e32 v52, 2, v0                               // 000000004F60: 24680082
	s_mul_i32 s56, s78, s67                                    // 000000004F64: 9238434E
	v_add_u32_e64 v80, v52, s56                                // 000000004F68: D1340050 00007134
	v_mov_b32_e32 v81, 0                                       // 000000004F70: 7EA20280
	s_mul_i32 s56, s79, s67                                    // 000000004F74: 9238434F
	v_add_u32_e64 v82, v52, s56                                // 000000004F78: D1340052 00007134
	v_mov_b32_e32 v83, 0                                       // 000000004F80: 7EA60280
	s_mul_i32 s56, s80, s67                                    // 000000004F84: 92384350
	v_add_u32_e64 v84, v52, s56                                // 000000004F88: D1340054 00007134
	v_mov_b32_e32 v85, 0                                       // 000000004F90: 7EAA0280
	s_mul_i32 s56, s81, s67                                    // 000000004F94: 92384351
	v_add_u32_e64 v86, v52, s56                                // 000000004F98: D1340056 00007134
	v_mov_b32_e32 v87, 0                                       // 000000004FA0: 7EAE0280
	s_mul_i32 s56, s82, s67                                    // 000000004FA4: 92384352
	v_add_u32_e64 v88, v52, s56                                // 000000004FA8: D1340058 00007134
	v_mov_b32_e32 v89, 0                                       // 000000004FB0: 7EB20280
	s_mul_i32 s56, s83, s67                                    // 000000004FB4: 92384353
	v_add_u32_e64 v90, v52, s56                                // 000000004FB8: D134005A 00007134
	v_mov_b32_e32 v91, 0                                       // 000000004FC0: 7EB60280
	s_mul_i32 s56, s84, s67                                    // 000000004FC4: 92384354
	v_add_u32_e64 v92, v52, s56                                // 000000004FC8: D134005C 00007134
	v_mov_b32_e32 v93, 0                                       // 000000004FD0: 7EBA0280
	s_mul_i32 s56, s85, s67                                    // 000000004FD4: 92384355
	v_add_u32_e64 v94, v52, s56                                // 000000004FD8: D134005E 00007134
	v_mov_b32_e32 v95, 0                                       // 000000004FE0: 7EBE0280
	s_add_u32 s12, s52, s12                                    // 000000004FE4: 800C0C34
	s_addc_u32 s13, 0, s13                                     // 000000004FE8: 820D0D80
	s_add_u32 s16, s75, s16                                    // 000000004FEC: 8010104B
	s_addc_u32 s17, 0, s17                                     // 000000004FF0: 82111180
	s_waitcnt lgkmcnt(0)                                       // 000000004FF4: BF8CC07F
	s_barrier                                                  // 000000004FF8: BF8A0000
	v_mov_b32_e32 v160, 0                                      // 000000004FFC: 7F400280
	v_mov_b32_e32 v192, 0                                      // 000000005000: 7F800280
	v_mov_b32_e32 v161, 0                                      // 000000005004: 7F420280
	v_mov_b32_e32 v193, 0                                      // 000000005008: 7F820280
	v_mov_b32_e32 v162, 0                                      // 00000000500C: 7F440280
	v_mov_b32_e32 v194, 0                                      // 000000005010: 7F840280
	v_mov_b32_e32 v163, 0                                      // 000000005014: 7F460280
	v_mov_b32_e32 v195, 0                                      // 000000005018: 7F860280
	v_mov_b32_e32 v164, 0                                      // 00000000501C: 7F480280
	v_mov_b32_e32 v196, 0                                      // 000000005020: 7F880280
	v_mov_b32_e32 v165, 0                                      // 000000005024: 7F4A0280
	v_mov_b32_e32 v197, 0                                      // 000000005028: 7F8A0280
	v_mov_b32_e32 v166, 0                                      // 00000000502C: 7F4C0280
	v_mov_b32_e32 v198, 0                                      // 000000005030: 7F8C0280
	v_mov_b32_e32 v167, 0                                      // 000000005034: 7F4E0280
	v_mov_b32_e32 v199, 0                                      // 000000005038: 7F8E0280
	v_mov_b32_e32 v168, 0                                      // 00000000503C: 7F500280
	v_mov_b32_e32 v200, 0                                      // 000000005040: 7F900280
	v_mov_b32_e32 v169, 0                                      // 000000005044: 7F520280
	v_mov_b32_e32 v201, 0                                      // 000000005048: 7F920280
	v_mov_b32_e32 v170, 0                                      // 00000000504C: 7F540280
	v_mov_b32_e32 v202, 0                                      // 000000005050: 7F940280
	v_mov_b32_e32 v171, 0                                      // 000000005054: 7F560280
	v_mov_b32_e32 v203, 0                                      // 000000005058: 7F960280
	v_mov_b32_e32 v172, 0                                      // 00000000505C: 7F580280
	v_mov_b32_e32 v204, 0                                      // 000000005060: 7F980280
	v_mov_b32_e32 v173, 0                                      // 000000005064: 7F5A0280
	v_mov_b32_e32 v205, 0                                      // 000000005068: 7F9A0280
	v_mov_b32_e32 v174, 0                                      // 00000000506C: 7F5C0280
	v_mov_b32_e32 v206, 0                                      // 000000005070: 7F9C0280
	v_mov_b32_e32 v175, 0                                      // 000000005074: 7F5E0280
	v_mov_b32_e32 v207, 0                                      // 000000005078: 7F9E0280
	ds_write_b64 v4, v[160:161] offset:20992                   // 00000000507C: D89A5200 0000A004
	ds_write_b64 v4, v[162:163] offset:29696                   // 000000005084: D89A7400 0000A204
	ds_write_b64 v4, v[164:165] offset:23168                   // 00000000508C: D89A5A80 0000A404
	ds_write_b64 v4, v[166:167] offset:31872                   // 000000005094: D89A7C80 0000A604
	ds_write_b64 v4, v[168:169] offset:25344                   // 00000000509C: D89A6300 0000A804
	ds_write_b64 v4, v[170:171] offset:34048                   // 0000000050A4: D89A8500 0000AA04
	ds_write_b64 v4, v[172:173] offset:27520                   // 0000000050AC: D89A6B80 0000AC04
	ds_write_b64 v4, v[174:175] offset:36224                   // 0000000050B4: D89A8D80 0000AE04
	s_mov_b32 s76, 0                                           // 0000000050BC: BECC0080
	s_waitcnt vmcnt(0) expcnt(0) lgkmcnt(0)                    // 0000000050C0: BF8C0000

00000000000050c4 <label_08B1>:
	s_waitcnt vmcnt(12) lgkmcnt(0)                             // 0000000050C4: BF8C007C
	s_barrier                                                  // 0000000050C8: BF8A0000
	v_mfma_f32_16x16x128_f8f6f4 v[160:163], a[0:7], a[128:135], 0// 0000000050CC: D3AD00A0 1A030100
	ds_read_b32 v64, v6 offset:20992                           // 0000000050D4: D86C5200 40000006
	ds_read_b32 v65, v6 offset:25344                           // 0000000050DC: D86C6300 41000006
	ds_read_b32 v66, v6 offset:21000                           // 0000000050E4: D86C5208 42000006
	ds_read_b32 v67, v6 offset:25352                           // 0000000050EC: D86C6308 43000006
	v_mfma_f32_16x16x128_f8f6f4 v[164:167], a[0:7], a[144:151], 0// 0000000050F4: D3AD00A4 1A032100
	buffer_load_dwordx4 a[64:67], v43, s[12:15], 0 offen       // 0000000050FC: E05C1000 8083402B
	buffer_load_dwordx4 a[68:71], v43, s[12:15], 0 offen offset:1024// 000000005104: E05C1400 8083442B
	v_mfma_f32_16x16x128_f8f6f4 v[168:171], a[8:15], a[128:135], 0// 00000000510C: D3AD00A8 1A030108
	ds_read_b32 v68, v6 offset:21024                           // 000000005114: D86C5220 44000006
	ds_read_b32 v69, v6 offset:25376                           // 00000000511C: D86C6320 45000006
	ds_read_b32 v70, v6 offset:21032                           // 000000005124: D86C5228 46000006
	ds_read_b32 v71, v6 offset:25384                           // 00000000512C: D86C6328 47000006
	v_mfma_f32_16x16x128_f8f6f4 v[172:175], a[8:15], a[144:151], 0// 000000005134: D3AD00AC 1A032108
	buffer_load_dwordx4 a[72:75], v44, s[12:15], 0 offen       // 00000000513C: E05C1000 8083482C
	buffer_load_dwordx4 a[76:79], v44, s[12:15], 0 offen offset:1024// 000000005144: E05C1400 80834C2C
	buffer_load_dword v30, v8, s[16:19], 0 offen               // 00000000514C: E0501000 80041E08
	s_waitcnt vmcnt(13)                                        // 000000005154: BF8C0F7D
	v_mfma_f32_16x16x128_f8f6f4 v[176:179], a[16:23], a[128:135], 0// 000000005158: D3AD00B0 1A030110
	ds_read_b32 v72, v6 offset:29696                           // 000000005160: D86C7400 48000006
	ds_read_b32 v73, v6 offset:34048                           // 000000005168: D86C8500 49000006
	ds_read_b32 v74, v6 offset:29704                           // 000000005170: D86C7408 4A000006
	ds_read_b32 v75, v6 offset:34056                           // 000000005178: D86C8508 4B000006
	v_mfma_f32_16x16x128_f8f6f4 v[180:183], a[16:23], a[144:151], 0// 000000005180: D3AD00B4 1A032110
	buffer_load_dwordx4 a[80:83], v45, s[12:15], 0 offen       // 000000005188: E05C1000 8083502D
	buffer_load_dwordx4 a[84:87], v45, s[12:15], 0 offen offset:1024// 000000005190: E05C1400 8083542D
	v_mfma_f32_16x16x128_f8f6f4 v[184:187], a[24:31], a[128:135], 0// 000000005198: D3AD00B8 1A030118
	ds_read_b32 v76, v6 offset:29728                           // 0000000051A0: D86C7420 4C000006
	ds_read_b32 v77, v6 offset:34080                           // 0000000051A8: D86C8520 4D000006
	ds_read_b32 v78, v6 offset:29736                           // 0000000051B0: D86C7428 4E000006
	ds_read_b32 v79, v6 offset:34088                           // 0000000051B8: D86C8528 4F000006
	v_mfma_f32_16x16x128_f8f6f4 v[188:191], a[24:31], a[144:151], 0// 0000000051C0: D3AD00BC 1A032118
	buffer_load_dwordx4 a[88:91], v46, s[12:15], 0 offen       // 0000000051C8: E05C1000 8083582E
	buffer_load_dwordx4 a[92:95], v46, s[12:15], 0 offen offset:1024// 0000000051D0: E05C1400 80835C2E
	s_add_u32 s12, s74, s12                                    // 0000000051D8: 800C0C4A
	s_addc_u32 s13, 0, s13                                     // 0000000051DC: 820D0D80
	v_mul_f32_dpp v52, v29, v21 row_newbcast:0 row_mask:0xf bank_mask:0xf// 0000000051E0: 0A682AFA FF01501D
	v_mov_b32_e32 v53, v52                                     // 0000000051E8: 7E6A0334
	v_pk_mul_f32 v[160:161], v[52:53], v[160:161]              // 0000000051EC: D3B140A0 18034134
	v_pk_mul_f32 v[162:163], v[52:53], v[162:163]              // 0000000051F4: D3B140A2 18034534
	v_pk_mul_f32 v[168:169], v[52:53], v[168:169]              // 0000000051FC: D3B140A8 18035134
	v_pk_mul_f32 v[170:171], v[52:53], v[170:171]              // 000000005204: D3B140AA 18035534
	v_mul_f32_dpp v52, v29, v21 row_newbcast:1 row_mask:0xf bank_mask:0xf// 00000000520C: 0A682AFA FF01511D
	v_mov_b32_e32 v53, v52                                     // 000000005214: 7E6A0334
	v_pk_mul_f32 v[176:177], v[52:53], v[176:177]              // 000000005218: D3B140B0 18036134
	v_pk_mul_f32 v[178:179], v[52:53], v[178:179]              // 000000005220: D3B140B2 18036534
	v_pk_mul_f32 v[184:185], v[52:53], v[184:185]              // 000000005228: D3B140B8 18037134
	v_pk_mul_f32 v[186:187], v[52:53], v[186:187]              // 000000005230: D3B140BA 18037534
	v_mul_f32_dpp v52, v29, v22 row_newbcast:0 row_mask:0xf bank_mask:0xf// 000000005238: 0A682CFA FF01501D
	v_mov_b32_e32 v53, v52                                     // 000000005240: 7E6A0334
	v_pk_mul_f32 v[164:165], v[52:53], v[164:165]              // 000000005244: D3B140A4 18034934
	v_pk_mul_f32 v[166:167], v[52:53], v[166:167]              // 00000000524C: D3B140A6 18034D34
	v_pk_mul_f32 v[172:173], v[52:53], v[172:173]              // 000000005254: D3B140AC 18035934
	v_pk_mul_f32 v[174:175], v[52:53], v[174:175]              // 00000000525C: D3B140AE 18035D34
	v_mul_f32_dpp v52, v29, v22 row_newbcast:1 row_mask:0xf bank_mask:0xf// 000000005264: 0A682CFA FF01511D
	v_mov_b32_e32 v53, v52                                     // 00000000526C: 7E6A0334
	v_pk_mul_f32 v[180:181], v[52:53], v[180:181]              // 000000005270: D3B140B4 18036934
	v_pk_mul_f32 v[182:183], v[52:53], v[182:183]              // 000000005278: D3B140B6 18036D34
	v_pk_mul_f32 v[188:189], v[52:53], v[188:189]              // 000000005280: D3B140BC 18037934
	v_pk_mul_f32 v[190:191], v[52:53], v[190:191]              // 000000005288: D3B140BE 18037D34
	s_waitcnt vmcnt(13)                                        // 000000005290: BF8C0F7D
	v_mfma_f32_16x16x128_f8f6f4 v[128:131], a[32:39], a[136:143], 0// 000000005294: D3AD0080 1A031120
	ds_write_b64 v4, v[192:193] offset:38400                   // 00000000529C: D89A9600 0000C004
	ds_write_b64 v4, v[194:195] offset:47104                   // 0000000052A4: D89AB800 0000C204
	v_mfma_f32_16x16x128_f8f6f4 v[132:135], a[32:39], a[152:159], 0// 0000000052AC: D3AD0084 1A033120
	buffer_load_dwordx4 a[96:99], v43, s[12:15], 0 offen       // 0000000052B4: E05C1000 8083602B
	buffer_load_dwordx4 a[100:103], v43, s[12:15], 0 offen offset:1024// 0000000052BC: E05C1400 8083642B
	v_mfma_f32_16x16x128_f8f6f4 v[136:139], a[40:47], a[136:143], 0// 0000000052C4: D3AD0088 1A031128
	ds_write_b64 v4, v[196:197] offset:40576                   // 0000000052CC: D89A9E80 0000C404
	ds_write_b64 v4, v[198:199] offset:49280                   // 0000000052D4: D89AC080 0000C604
	v_mfma_f32_16x16x128_f8f6f4 v[140:143], a[40:47], a[152:159], 0// 0000000052DC: D3AD008C 1A033128
	buffer_load_dwordx4 a[104:107], v44, s[12:15], 0 offen     // 0000000052E4: E05C1000 8083682C
	buffer_load_dwordx4 a[108:111], v44, s[12:15], 0 offen offset:1024// 0000000052EC: E05C1400 80836C2C
	s_waitcnt vmcnt(13)                                        // 0000000052F4: BF8C0F7D
	v_mfma_f32_16x16x128_f8f6f4 v[144:147], a[48:55], a[136:143], 0// 0000000052F8: D3AD0090 1A031130
	ds_write_b64 v4, v[200:201] offset:42752                   // 000000005300: D89AA700 0000C804
	ds_write_b64 v4, v[202:203] offset:51456                   // 000000005308: D89AC900 0000CA04
	v_mfma_f32_16x16x128_f8f6f4 v[148:151], a[48:55], a[152:159], 0// 000000005310: D3AD0094 1A033130
	buffer_load_dwordx4 a[112:115], v45, s[12:15], 0 offen     // 000000005318: E05C1000 8083702D
	buffer_load_dwordx4 a[116:119], v45, s[12:15], 0 offen offset:1024// 000000005320: E05C1400 8083742D
	v_mfma_f32_16x16x128_f8f6f4 v[152:155], a[56:63], a[136:143], 0// 000000005328: D3AD0098 1A031138
	ds_write_b64 v4, v[204:205] offset:44928                   // 000000005330: D89AAF80 0000CC04
	ds_write_b64 v4, v[206:207] offset:53632                   // 000000005338: D89AD180 0000CE04
	v_mfma_f32_16x16x128_f8f6f4 v[156:159], a[56:63], a[152:159], 0// 000000005340: D3AD009C 1A033138
	buffer_load_dwordx4 a[120:123], v46, s[12:15], 0 offen     // 000000005348: E05C1000 8083782E
	buffer_load_dwordx4 a[124:127], v46, s[12:15], 0 offen offset:1024// 000000005350: E05C1400 80837C2E
	v_mul_f32_dpp v52, v29, v23 row_newbcast:2 row_mask:0xf bank_mask:0xf// 000000005358: 0A682EFA FF01521D
	v_mov_b32_e32 v53, v52                                     // 000000005360: 7E6A0334
	v_pk_fma_f32 v[160:161], v[128:129], v[52:53], v[160:161]  // 000000005364: D3B040A0 1E826980
	v_pk_fma_f32 v[162:163], v[130:131], v[52:53], v[162:163]  // 00000000536C: D3B040A2 1E8A6982
	v_pk_fma_f32 v[168:169], v[136:137], v[52:53], v[168:169]  // 000000005374: D3B040A8 1EA26988
	v_pk_fma_f32 v[170:171], v[138:139], v[52:53], v[170:171]  // 00000000537C: D3B040AA 1EAA698A
	v_mul_f32_dpp v52, v29, v23 row_newbcast:3 row_mask:0xf bank_mask:0xf// 000000005384: 0A682EFA FF01531D
	v_mov_b32_e32 v53, v52                                     // 00000000538C: 7E6A0334
	v_pk_fma_f32 v[176:177], v[144:145], v[52:53], v[176:177]  // 000000005390: D3B040B0 1EC26990
	v_pk_fma_f32 v[178:179], v[146:147], v[52:53], v[178:179]  // 000000005398: D3B040B2 1ECA6992
	v_pk_fma_f32 v[184:185], v[152:153], v[52:53], v[184:185]  // 0000000053A0: D3B040B8 1EE26998
	v_pk_fma_f32 v[186:187], v[154:155], v[52:53], v[186:187]  // 0000000053A8: D3B040BA 1EEA699A
	v_mul_f32_dpp v52, v29, v24 row_newbcast:2 row_mask:0xf bank_mask:0xf// 0000000053B0: 0A6830FA FF01521D
	v_mov_b32_e32 v53, v52                                     // 0000000053B8: 7E6A0334
	v_pk_fma_f32 v[164:165], v[132:133], v[52:53], v[164:165]  // 0000000053BC: D3B040A4 1E926984
	v_pk_fma_f32 v[166:167], v[134:135], v[52:53], v[166:167]  // 0000000053C4: D3B040A6 1E9A6986
	v_pk_fma_f32 v[172:173], v[140:141], v[52:53], v[172:173]  // 0000000053CC: D3B040AC 1EB2698C
	v_pk_fma_f32 v[174:175], v[142:143], v[52:53], v[174:175]  // 0000000053D4: D3B040AE 1EBA698E
	v_mul_f32_dpp v52, v29, v24 row_newbcast:3 row_mask:0xf bank_mask:0xf// 0000000053DC: 0A6830FA FF01531D
	v_mov_b32_e32 v53, v52                                     // 0000000053E4: 7E6A0334
	v_pk_fma_f32 v[180:181], v[148:149], v[52:53], v[180:181]  // 0000000053E8: D3B040B4 1ED26994
	v_pk_fma_f32 v[182:183], v[150:151], v[52:53], v[182:183]  // 0000000053F0: D3B040B6 1EDA6996
	v_pk_fma_f32 v[188:189], v[156:157], v[52:53], v[188:189]  // 0000000053F8: D3B040BC 1EF2699C
	v_pk_fma_f32 v[190:191], v[158:159], v[52:53], v[190:191]  // 000000005400: D3B040BE 1EFA699E
	s_add_u32 s56, 0x200, s76                                  // 000000005408: 80384CFF 00000200
	s_cmp_lt_u32 s56, s77                                      // 000000005410: BF0A4D38
	s_cselect_b32 s52, s52, 0                                  // 000000005414: 85348034
	s_cselect_b32 s74, s74, 0                                  // 000000005418: 854A804A
	s_cselect_b32 s75, s75, 0                                  // 00000000541C: 854B804B
	s_add_u32 s12, s52, s12                                    // 000000005420: 800C0C34
	s_addc_u32 s13, 0, s13                                     // 000000005424: 820D0D80
	s_add_u32 s16, s75, s16                                    // 000000005428: 8010104B
	s_addc_u32 s17, 0, s17                                     // 00000000542C: 82111180
	v_mov_b32_e32 v52, v31                                     // 000000005430: 7E68031F
	v_mov_b32_e32 v53, v31                                     // 000000005434: 7E6A031F
	v_pk_mul_f32 v[160:161], v[52:53], v[160:161]              // 000000005438: D3B140A0 18034134
	v_pk_mul_f32 v[162:163], v[52:53], v[162:163]              // 000000005440: D3B140A2 18034534
	v_pk_mul_f32 v[168:169], v[52:53], v[168:169]              // 000000005448: D3B140A8 18035134
	v_pk_mul_f32 v[170:171], v[52:53], v[170:171]              // 000000005450: D3B140AA 18035534
	v_pk_mul_f32 v[176:177], v[52:53], v[176:177]              // 000000005458: D3B140B0 18036134
	v_pk_mul_f32 v[178:179], v[52:53], v[178:179]              // 000000005460: D3B140B2 18036534
	v_pk_mul_f32 v[184:185], v[52:53], v[184:185]              // 000000005468: D3B140B8 18037134
	v_pk_mul_f32 v[186:187], v[52:53], v[186:187]              // 000000005470: D3B140BA 18037534
	v_mov_b32_e32 v52, v32                                     // 000000005478: 7E680320
	v_mov_b32_e32 v53, v32                                     // 00000000547C: 7E6A0320
	v_pk_mul_f32 v[164:165], v[52:53], v[164:165]              // 000000005480: D3B140A4 18034934
	v_pk_mul_f32 v[166:167], v[52:53], v[166:167]              // 000000005488: D3B140A6 18034D34
	v_pk_mul_f32 v[172:173], v[52:53], v[172:173]              // 000000005490: D3B140AC 18035934
	v_pk_mul_f32 v[174:175], v[52:53], v[174:175]              // 000000005498: D3B140AE 18035D34
	v_pk_mul_f32 v[180:181], v[52:53], v[180:181]              // 0000000054A0: D3B140B4 18036934
	v_pk_mul_f32 v[182:183], v[52:53], v[182:183]              // 0000000054A8: D3B140B6 18036D34
	v_pk_mul_f32 v[188:189], v[52:53], v[188:189]              // 0000000054B0: D3B140BC 18037934
	v_pk_mul_f32 v[190:191], v[52:53], v[190:191]              // 0000000054B8: D3B140BE 18037D34
	v_cvt_pk_bf16_f32 v160, v160, v161                         // 0000000054C0: D26800A0 000343A0
	v_cvt_pk_bf16_f32 v161, v162, v163                         // 0000000054C8: D26800A1 000347A2
	v_cvt_pk_bf16_f32 v162, v164, v165                         // 0000000054D0: D26800A2 00034BA4
	v_cvt_pk_bf16_f32 v163, v166, v167                         // 0000000054D8: D26800A3 00034FA6
	v_cvt_pk_bf16_f32 v164, v168, v169                         // 0000000054E0: D26800A4 000353A8
	v_cvt_pk_bf16_f32 v165, v170, v171                         // 0000000054E8: D26800A5 000357AA
	v_cvt_pk_bf16_f32 v166, v172, v173                         // 0000000054F0: D26800A6 00035BAC
	v_cvt_pk_bf16_f32 v167, v174, v175                         // 0000000054F8: D26800A7 00035FAE
	v_cvt_pk_bf16_f32 v168, v176, v177                         // 000000005500: D26800A8 000363B0
	v_cvt_pk_bf16_f32 v169, v178, v179                         // 000000005508: D26800A9 000367B2
	v_cvt_pk_bf16_f32 v170, v180, v181                         // 000000005510: D26800AA 00036BB4
	v_cvt_pk_bf16_f32 v171, v182, v183                         // 000000005518: D26800AB 00036FB6
	v_cvt_pk_bf16_f32 v172, v184, v185                         // 000000005520: D26800AC 000373B8
	v_cvt_pk_bf16_f32 v173, v186, v187                         // 000000005528: D26800AD 000377BA
	v_cvt_pk_bf16_f32 v174, v188, v189                         // 000000005530: D26800AE 00037BBC
	v_cvt_pk_bf16_f32 v175, v190, v191                         // 000000005538: D26800AF 00037FBE
	s_cmp_ge_u32 s76, 0x200                                    // 000000005540: BF09FF4C 00000200
	s_cselect_b32 s55, 0x200, s55                              // 000000005548: 853737FF 00000200
	s_setvskip s20, 0                                          // 000000005550: BF108014
	global_atomic_pk_add_bf16 v80, v64, s[8:9]                 // 000000005554: DD488000 00084050
	s_setvskip 0, 0                                            // 00000000555C: BF108080
	s_setvskip s20, 0                                          // 000000005560: BF108014
	global_atomic_pk_add_bf16 v80, v65, s[8:9] offset:256      // 000000005564: DD488100 00084150
	s_setvskip 0, 0                                            // 00000000556C: BF108080
	s_setvskip s20, 1                                          // 000000005570: BF108114
	global_atomic_pk_add_bf16 v82, v66, s[8:9]                 // 000000005574: DD488000 00084252
	s_setvskip 0, 0                                            // 00000000557C: BF108080
	s_setvskip s20, 1                                          // 000000005580: BF108114
	global_atomic_pk_add_bf16 v82, v67, s[8:9] offset:256      // 000000005584: DD488100 00084352
	s_setvskip 0, 0                                            // 00000000558C: BF108080
	s_setvskip s20, 2                                          // 000000005590: BF108214
	global_atomic_pk_add_bf16 v84, v68, s[8:9]                 // 000000005594: DD488000 00084454
	s_setvskip 0, 0                                            // 00000000559C: BF108080
	s_setvskip s20, 2                                          // 0000000055A0: BF108214
	global_atomic_pk_add_bf16 v84, v69, s[8:9] offset:256      // 0000000055A4: DD488100 00084554
	s_setvskip 0, 0                                            // 0000000055AC: BF108080
	s_setvskip s20, 3                                          // 0000000055B0: BF108314
	global_atomic_pk_add_bf16 v86, v70, s[8:9]                 // 0000000055B4: DD488000 00084656
	s_setvskip 0, 0                                            // 0000000055BC: BF108080
	s_setvskip s20, 3                                          // 0000000055C0: BF108314
	global_atomic_pk_add_bf16 v86, v71, s[8:9] offset:256      // 0000000055C4: DD488100 00084756
	s_setvskip 0, 0                                            // 0000000055CC: BF108080
	s_setvskip s20, 4                                          // 0000000055D0: BF108414
	global_atomic_pk_add_bf16 v88, v72, s[8:9]                 // 0000000055D4: DD488000 00084858
	s_setvskip 0, 0                                            // 0000000055DC: BF108080
	s_setvskip s20, 4                                          // 0000000055E0: BF108414
	global_atomic_pk_add_bf16 v88, v73, s[8:9] offset:256      // 0000000055E4: DD488100 00084958
	s_setvskip 0, 0                                            // 0000000055EC: BF108080
	s_setvskip s20, 5                                          // 0000000055F0: BF108514
	global_atomic_pk_add_bf16 v90, v74, s[8:9]                 // 0000000055F4: DD488000 00084A5A
	s_setvskip 0, 0                                            // 0000000055FC: BF108080
	s_setvskip s20, 5                                          // 000000005600: BF108514
	global_atomic_pk_add_bf16 v90, v75, s[8:9] offset:256      // 000000005604: DD488100 00084B5A
	s_setvskip 0, 0                                            // 00000000560C: BF108080
	s_setvskip s20, 6                                          // 000000005610: BF108614
	global_atomic_pk_add_bf16 v92, v76, s[8:9]                 // 000000005614: DD488000 00084C5C
	s_setvskip 0, 0                                            // 00000000561C: BF108080
	s_setvskip s20, 6                                          // 000000005620: BF108614
	global_atomic_pk_add_bf16 v92, v77, s[8:9] offset:256      // 000000005624: DD488100 00084D5C
	s_setvskip 0, 0                                            // 00000000562C: BF108080
	s_setvskip s20, 7                                          // 000000005630: BF108714
	global_atomic_pk_add_bf16 v94, v78, s[8:9]                 // 000000005634: DD488000 00084E5E
	s_setvskip 0, 0                                            // 00000000563C: BF108080
	s_setvskip s20, 7                                          // 000000005640: BF108714
	global_atomic_pk_add_bf16 v94, v79, s[8:9] offset:256      // 000000005644: DD488100 00084F5E
	s_setvskip 0, 0                                            // 00000000564C: BF108080
	s_add_u32 s8, s55, s8                                      // 000000005650: 80080837
	s_addc_u32 s9, 0, s9                                       // 000000005654: 82090980
	s_addk_i32 s76, 0x100                                      // 000000005658: B74C0100
	s_cmp_lt_i32 s76, s77                                      // 00000000565C: BF044D4C
	s_cbranch_scc0 label_0B82                                  // 000000005660: BF840169
	s_waitcnt vmcnt(12) lgkmcnt(0)                             // 000000005664: BF8C007C
	s_barrier                                                  // 000000005668: BF8A0000
	v_mfma_f32_16x16x128_f8f6f4 v[192:195], a[64:71], a[128:135], 0// 00000000566C: D3AD00C0 1A030140
	ds_read_b32 v64, v6 offset:38400                           // 000000005674: D86C9600 40000006
	ds_read_b32 v65, v6 offset:42752                           // 00000000567C: D86CA700 41000006
	ds_read_b32 v66, v6 offset:38408                           // 000000005684: D86C9608 42000006
	ds_read_b32 v67, v6 offset:42760                           // 00000000568C: D86CA708 43000006
	v_mfma_f32_16x16x128_f8f6f4 v[196:199], a[64:71], a[144:151], 0// 000000005694: D3AD00C4 1A032140
	buffer_load_dwordx4 a[0:3], v43, s[12:15], 0 offen         // 00000000569C: E05C1000 8083002B
	buffer_load_dwordx4 a[4:7], v43, s[12:15], 0 offen offset:1024// 0000000056A4: E05C1400 8083042B
	v_mfma_f32_16x16x128_f8f6f4 v[200:203], a[72:79], a[128:135], 0// 0000000056AC: D3AD00C8 1A030148
	ds_read_b32 v68, v6 offset:38432                           // 0000000056B4: D86C9620 44000006
	ds_read_b32 v69, v6 offset:42784                           // 0000000056BC: D86CA720 45000006
	ds_read_b32 v70, v6 offset:38440                           // 0000000056C4: D86C9628 46000006
	ds_read_b32 v71, v6 offset:42792                           // 0000000056CC: D86CA728 47000006
	v_mfma_f32_16x16x128_f8f6f4 v[204:207], a[72:79], a[144:151], 0// 0000000056D4: D3AD00CC 1A032148
	buffer_load_dwordx4 a[8:11], v44, s[12:15], 0 offen        // 0000000056DC: E05C1000 8083082C
	buffer_load_dwordx4 a[12:15], v44, s[12:15], 0 offen offset:1024// 0000000056E4: E05C1400 80830C2C
	buffer_load_dword v29, v8, s[16:19], 0 offen               // 0000000056EC: E0501000 80041D08
	s_waitcnt vmcnt(13)                                        // 0000000056F4: BF8C0F7D
	v_mfma_f32_16x16x128_f8f6f4 v[208:211], a[80:87], a[128:135], 0// 0000000056F8: D3AD00D0 1A030150
	ds_read_b32 v72, v6 offset:47104                           // 000000005700: D86CB800 48000006
	ds_read_b32 v73, v6 offset:51456                           // 000000005708: D86CC900 49000006
	ds_read_b32 v74, v6 offset:47112                           // 000000005710: D86CB808 4A000006
	ds_read_b32 v75, v6 offset:51464                           // 000000005718: D86CC908 4B000006
	v_mfma_f32_16x16x128_f8f6f4 v[212:215], a[80:87], a[144:151], 0// 000000005720: D3AD00D4 1A032150
	buffer_load_dwordx4 a[16:19], v45, s[12:15], 0 offen       // 000000005728: E05C1000 8083102D
	buffer_load_dwordx4 a[20:23], v45, s[12:15], 0 offen offset:1024// 000000005730: E05C1400 8083142D
	v_mfma_f32_16x16x128_f8f6f4 v[216:219], a[88:95], a[128:135], 0// 000000005738: D3AD00D8 1A030158
	ds_read_b32 v76, v6 offset:47136                           // 000000005740: D86CB820 4C000006
	ds_read_b32 v77, v6 offset:51488                           // 000000005748: D86CC920 4D000006
	ds_read_b32 v78, v6 offset:47144                           // 000000005750: D86CB828 4E000006
	ds_read_b32 v79, v6 offset:51496                           // 000000005758: D86CC928 4F000006
	v_mfma_f32_16x16x128_f8f6f4 v[220:223], a[88:95], a[144:151], 0// 000000005760: D3AD00DC 1A032158
	buffer_load_dwordx4 a[24:27], v46, s[12:15], 0 offen       // 000000005768: E05C1000 8083182E
	buffer_load_dwordx4 a[28:31], v46, s[12:15], 0 offen offset:1024// 000000005770: E05C1400 80831C2E
	s_add_u32 s12, s74, s12                                    // 000000005778: 800C0C4A
	s_addc_u32 s13, 0, s13                                     // 00000000577C: 820D0D80
	v_mul_f32_dpp v52, v30, v21 row_newbcast:0 row_mask:0xf bank_mask:0xf// 000000005780: 0A682AFA FF01501E
	v_mov_b32_e32 v53, v52                                     // 000000005788: 7E6A0334
	v_pk_mul_f32 v[192:193], v[52:53], v[192:193]              // 00000000578C: D3B140C0 18038134
	v_pk_mul_f32 v[194:195], v[52:53], v[194:195]              // 000000005794: D3B140C2 18038534
	v_pk_mul_f32 v[200:201], v[52:53], v[200:201]              // 00000000579C: D3B140C8 18039134
	v_pk_mul_f32 v[202:203], v[52:53], v[202:203]              // 0000000057A4: D3B140CA 18039534
	v_mul_f32_dpp v52, v30, v21 row_newbcast:1 row_mask:0xf bank_mask:0xf// 0000000057AC: 0A682AFA FF01511E
	v_mov_b32_e32 v53, v52                                     // 0000000057B4: 7E6A0334
	v_pk_mul_f32 v[208:209], v[52:53], v[208:209]              // 0000000057B8: D3B140D0 1803A134
	v_pk_mul_f32 v[210:211], v[52:53], v[210:211]              // 0000000057C0: D3B140D2 1803A534
	v_pk_mul_f32 v[216:217], v[52:53], v[216:217]              // 0000000057C8: D3B140D8 1803B134
	v_pk_mul_f32 v[218:219], v[52:53], v[218:219]              // 0000000057D0: D3B140DA 1803B534
	v_mul_f32_dpp v52, v30, v22 row_newbcast:0 row_mask:0xf bank_mask:0xf// 0000000057D8: 0A682CFA FF01501E
	v_mov_b32_e32 v53, v52                                     // 0000000057E0: 7E6A0334
	v_pk_mul_f32 v[196:197], v[52:53], v[196:197]              // 0000000057E4: D3B140C4 18038934
	v_pk_mul_f32 v[198:199], v[52:53], v[198:199]              // 0000000057EC: D3B140C6 18038D34
	v_pk_mul_f32 v[204:205], v[52:53], v[204:205]              // 0000000057F4: D3B140CC 18039934
	v_pk_mul_f32 v[206:207], v[52:53], v[206:207]              // 0000000057FC: D3B140CE 18039D34
	v_mul_f32_dpp v52, v30, v22 row_newbcast:1 row_mask:0xf bank_mask:0xf// 000000005804: 0A682CFA FF01511E
	v_mov_b32_e32 v53, v52                                     // 00000000580C: 7E6A0334
	v_pk_mul_f32 v[212:213], v[52:53], v[212:213]              // 000000005810: D3B140D4 1803A934
	v_pk_mul_f32 v[214:215], v[52:53], v[214:215]              // 000000005818: D3B140D6 1803AD34
	v_pk_mul_f32 v[220:221], v[52:53], v[220:221]              // 000000005820: D3B140DC 1803B934
	v_pk_mul_f32 v[222:223], v[52:53], v[222:223]              // 000000005828: D3B140DE 1803BD34
	s_waitcnt vmcnt(13)                                        // 000000005830: BF8C0F7D
	v_mfma_f32_16x16x128_f8f6f4 v[128:131], a[96:103], a[136:143], 0// 000000005834: D3AD0080 1A031160
	ds_write_b64 v4, v[160:161] offset:20992                   // 00000000583C: D89A5200 0000A004
	ds_write_b64 v4, v[162:163] offset:29696                   // 000000005844: D89A7400 0000A204
	v_mfma_f32_16x16x128_f8f6f4 v[132:135], a[96:103], a[152:159], 0// 00000000584C: D3AD0084 1A033160
	buffer_load_dwordx4 a[32:35], v43, s[12:15], 0 offen       // 000000005854: E05C1000 8083202B
	buffer_load_dwordx4 a[36:39], v43, s[12:15], 0 offen offset:1024// 00000000585C: E05C1400 8083242B
	v_mfma_f32_16x16x128_f8f6f4 v[136:139], a[104:111], a[136:143], 0// 000000005864: D3AD0088 1A031168
	ds_write_b64 v4, v[164:165] offset:23168                   // 00000000586C: D89A5A80 0000A404
	ds_write_b64 v4, v[166:167] offset:31872                   // 000000005874: D89A7C80 0000A604
	v_mfma_f32_16x16x128_f8f6f4 v[140:143], a[104:111], a[152:159], 0// 00000000587C: D3AD008C 1A033168
	buffer_load_dwordx4 a[40:43], v44, s[12:15], 0 offen       // 000000005884: E05C1000 8083282C
	buffer_load_dwordx4 a[44:47], v44, s[12:15], 0 offen offset:1024// 00000000588C: E05C1400 80832C2C
	s_waitcnt vmcnt(13)                                        // 000000005894: BF8C0F7D
	v_mfma_f32_16x16x128_f8f6f4 v[144:147], a[112:119], a[136:143], 0// 000000005898: D3AD0090 1A031170
	ds_write_b64 v4, v[168:169] offset:25344                   // 0000000058A0: D89A6300 0000A804
	ds_write_b64 v4, v[170:171] offset:34048                   // 0000000058A8: D89A8500 0000AA04
	v_mfma_f32_16x16x128_f8f6f4 v[148:151], a[112:119], a[152:159], 0// 0000000058B0: D3AD0094 1A033170
	buffer_load_dwordx4 a[48:51], v45, s[12:15], 0 offen       // 0000000058B8: E05C1000 8083302D
	buffer_load_dwordx4 a[52:55], v45, s[12:15], 0 offen offset:1024// 0000000058C0: E05C1400 8083342D
	v_mfma_f32_16x16x128_f8f6f4 v[152:155], a[120:127], a[136:143], 0// 0000000058C8: D3AD0098 1A031178
	ds_write_b64 v4, v[172:173] offset:27520                   // 0000000058D0: D89A6B80 0000AC04
	ds_write_b64 v4, v[174:175] offset:36224                   // 0000000058D8: D89A8D80 0000AE04
	v_mfma_f32_16x16x128_f8f6f4 v[156:159], a[120:127], a[152:159], 0// 0000000058E0: D3AD009C 1A033178
	buffer_load_dwordx4 a[56:59], v46, s[12:15], 0 offen       // 0000000058E8: E05C1000 8083382E
	buffer_load_dwordx4 a[60:63], v46, s[12:15], 0 offen offset:1024// 0000000058F0: E05C1400 80833C2E
	v_mul_f32_dpp v52, v30, v23 row_newbcast:2 row_mask:0xf bank_mask:0xf// 0000000058F8: 0A682EFA FF01521E
	v_mov_b32_e32 v53, v52                                     // 000000005900: 7E6A0334
	v_pk_fma_f32 v[192:193], v[128:129], v[52:53], v[192:193]  // 000000005904: D3B040C0 1F026980
	v_pk_fma_f32 v[194:195], v[130:131], v[52:53], v[194:195]  // 00000000590C: D3B040C2 1F0A6982
	v_pk_fma_f32 v[200:201], v[136:137], v[52:53], v[200:201]  // 000000005914: D3B040C8 1F226988
	v_pk_fma_f32 v[202:203], v[138:139], v[52:53], v[202:203]  // 00000000591C: D3B040CA 1F2A698A
	v_mul_f32_dpp v52, v30, v23 row_newbcast:3 row_mask:0xf bank_mask:0xf// 000000005924: 0A682EFA FF01531E
	v_mov_b32_e32 v53, v52                                     // 00000000592C: 7E6A0334
	v_pk_fma_f32 v[208:209], v[144:145], v[52:53], v[208:209]  // 000000005930: D3B040D0 1F426990
	v_pk_fma_f32 v[210:211], v[146:147], v[52:53], v[210:211]  // 000000005938: D3B040D2 1F4A6992
	v_pk_fma_f32 v[216:217], v[152:153], v[52:53], v[216:217]  // 000000005940: D3B040D8 1F626998
	v_pk_fma_f32 v[218:219], v[154:155], v[52:53], v[218:219]  // 000000005948: D3B040DA 1F6A699A
	v_mul_f32_dpp v52, v30, v24 row_newbcast:2 row_mask:0xf bank_mask:0xf// 000000005950: 0A6830FA FF01521E
	v_mov_b32_e32 v53, v52                                     // 000000005958: 7E6A0334
	v_pk_fma_f32 v[196:197], v[132:133], v[52:53], v[196:197]  // 00000000595C: D3B040C4 1F126984
	v_pk_fma_f32 v[198:199], v[134:135], v[52:53], v[198:199]  // 000000005964: D3B040C6 1F1A6986
	v_pk_fma_f32 v[204:205], v[140:141], v[52:53], v[204:205]  // 00000000596C: D3B040CC 1F32698C
	v_pk_fma_f32 v[206:207], v[142:143], v[52:53], v[206:207]  // 000000005974: D3B040CE 1F3A698E
	v_mul_f32_dpp v52, v30, v24 row_newbcast:3 row_mask:0xf bank_mask:0xf// 00000000597C: 0A6830FA FF01531E
	v_mov_b32_e32 v53, v52                                     // 000000005984: 7E6A0334
	v_pk_fma_f32 v[212:213], v[148:149], v[52:53], v[212:213]  // 000000005988: D3B040D4 1F526994
	v_pk_fma_f32 v[214:215], v[150:151], v[52:53], v[214:215]  // 000000005990: D3B040D6 1F5A6996
	v_pk_fma_f32 v[220:221], v[156:157], v[52:53], v[220:221]  // 000000005998: D3B040DC 1F72699C
	v_pk_fma_f32 v[222:223], v[158:159], v[52:53], v[222:223]  // 0000000059A0: D3B040DE 1F7A699E
	s_add_u32 s56, 0x200, s76                                  // 0000000059A8: 80384CFF 00000200
	s_cmp_lt_u32 s56, s77                                      // 0000000059B0: BF0A4D38
	s_cselect_b32 s52, s52, 0                                  // 0000000059B4: 85348034
	s_cselect_b32 s74, s74, 0                                  // 0000000059B8: 854A804A
	s_cselect_b32 s75, s75, 0                                  // 0000000059BC: 854B804B
	s_add_u32 s12, s52, s12                                    // 0000000059C0: 800C0C34
	s_addc_u32 s13, 0, s13                                     // 0000000059C4: 820D0D80
	s_add_u32 s16, s75, s16                                    // 0000000059C8: 8010104B
	s_addc_u32 s17, 0, s17                                     // 0000000059CC: 82111180
	v_mov_b32_e32 v52, v31                                     // 0000000059D0: 7E68031F
	v_mov_b32_e32 v53, v31                                     // 0000000059D4: 7E6A031F
	v_pk_mul_f32 v[192:193], v[52:53], v[192:193]              // 0000000059D8: D3B140C0 18038134
	v_pk_mul_f32 v[194:195], v[52:53], v[194:195]              // 0000000059E0: D3B140C2 18038534
	v_pk_mul_f32 v[200:201], v[52:53], v[200:201]              // 0000000059E8: D3B140C8 18039134
	v_pk_mul_f32 v[202:203], v[52:53], v[202:203]              // 0000000059F0: D3B140CA 18039534
	v_pk_mul_f32 v[208:209], v[52:53], v[208:209]              // 0000000059F8: D3B140D0 1803A134
	v_pk_mul_f32 v[210:211], v[52:53], v[210:211]              // 000000005A00: D3B140D2 1803A534
	v_pk_mul_f32 v[216:217], v[52:53], v[216:217]              // 000000005A08: D3B140D8 1803B134
	v_pk_mul_f32 v[218:219], v[52:53], v[218:219]              // 000000005A10: D3B140DA 1803B534
	v_mov_b32_e32 v52, v32                                     // 000000005A18: 7E680320
	v_mov_b32_e32 v53, v32                                     // 000000005A1C: 7E6A0320
	v_pk_mul_f32 v[196:197], v[52:53], v[196:197]              // 000000005A20: D3B140C4 18038934
	v_pk_mul_f32 v[198:199], v[52:53], v[198:199]              // 000000005A28: D3B140C6 18038D34
	v_pk_mul_f32 v[204:205], v[52:53], v[204:205]              // 000000005A30: D3B140CC 18039934
	v_pk_mul_f32 v[206:207], v[52:53], v[206:207]              // 000000005A38: D3B140CE 18039D34
	v_pk_mul_f32 v[212:213], v[52:53], v[212:213]              // 000000005A40: D3B140D4 1803A934
	v_pk_mul_f32 v[214:215], v[52:53], v[214:215]              // 000000005A48: D3B140D6 1803AD34
	v_pk_mul_f32 v[220:221], v[52:53], v[220:221]              // 000000005A50: D3B140DC 1803B934
	v_pk_mul_f32 v[222:223], v[52:53], v[222:223]              // 000000005A58: D3B140DE 1803BD34
	v_cvt_pk_bf16_f32 v192, v192, v193                         // 000000005A60: D26800C0 000383C0
	v_cvt_pk_bf16_f32 v193, v194, v195                         // 000000005A68: D26800C1 000387C2
	v_cvt_pk_bf16_f32 v194, v196, v197                         // 000000005A70: D26800C2 00038BC4
	v_cvt_pk_bf16_f32 v195, v198, v199                         // 000000005A78: D26800C3 00038FC6
	v_cvt_pk_bf16_f32 v196, v200, v201                         // 000000005A80: D26800C4 000393C8
	v_cvt_pk_bf16_f32 v197, v202, v203                         // 000000005A88: D26800C5 000397CA
	v_cvt_pk_bf16_f32 v198, v204, v205                         // 000000005A90: D26800C6 00039BCC
	v_cvt_pk_bf16_f32 v199, v206, v207                         // 000000005A98: D26800C7 00039FCE
	v_cvt_pk_bf16_f32 v200, v208, v209                         // 000000005AA0: D26800C8 0003A3D0
	v_cvt_pk_bf16_f32 v201, v210, v211                         // 000000005AA8: D26800C9 0003A7D2
	v_cvt_pk_bf16_f32 v202, v212, v213                         // 000000005AB0: D26800CA 0003ABD4
	v_cvt_pk_bf16_f32 v203, v214, v215                         // 000000005AB8: D26800CB 0003AFD6
	v_cvt_pk_bf16_f32 v204, v216, v217                         // 000000005AC0: D26800CC 0003B3D8
	v_cvt_pk_bf16_f32 v205, v218, v219                         // 000000005AC8: D26800CD 0003B7DA
	v_cvt_pk_bf16_f32 v206, v220, v221                         // 000000005AD0: D26800CE 0003BBDC
	v_cvt_pk_bf16_f32 v207, v222, v223                         // 000000005AD8: D26800CF 0003BFDE
	s_cmp_ge_u32 s76, 0x200                                    // 000000005AE0: BF09FF4C 00000200
	s_cselect_b32 s55, 0x200, s55                              // 000000005AE8: 853737FF 00000200
	s_setvskip s20, 0                                          // 000000005AF0: BF108014
	global_atomic_pk_add_bf16 v80, v64, s[8:9]                 // 000000005AF4: DD488000 00084050
	s_setvskip 0, 0                                            // 000000005AFC: BF108080
	s_setvskip s20, 0                                          // 000000005B00: BF108014
	global_atomic_pk_add_bf16 v80, v65, s[8:9] offset:256      // 000000005B04: DD488100 00084150
	s_setvskip 0, 0                                            // 000000005B0C: BF108080
	s_setvskip s20, 1                                          // 000000005B10: BF108114
	global_atomic_pk_add_bf16 v82, v66, s[8:9]                 // 000000005B14: DD488000 00084252
	s_setvskip 0, 0                                            // 000000005B1C: BF108080
	s_setvskip s20, 1                                          // 000000005B20: BF108114
	global_atomic_pk_add_bf16 v82, v67, s[8:9] offset:256      // 000000005B24: DD488100 00084352
	s_setvskip 0, 0                                            // 000000005B2C: BF108080
	s_setvskip s20, 2                                          // 000000005B30: BF108214
	global_atomic_pk_add_bf16 v84, v68, s[8:9]                 // 000000005B34: DD488000 00084454
	s_setvskip 0, 0                                            // 000000005B3C: BF108080
	s_setvskip s20, 2                                          // 000000005B40: BF108214
	global_atomic_pk_add_bf16 v84, v69, s[8:9] offset:256      // 000000005B44: DD488100 00084554
	s_setvskip 0, 0                                            // 000000005B4C: BF108080
	s_setvskip s20, 3                                          // 000000005B50: BF108314
	global_atomic_pk_add_bf16 v86, v70, s[8:9]                 // 000000005B54: DD488000 00084656
	s_setvskip 0, 0                                            // 000000005B5C: BF108080
	s_setvskip s20, 3                                          // 000000005B60: BF108314
	global_atomic_pk_add_bf16 v86, v71, s[8:9] offset:256      // 000000005B64: DD488100 00084756
	s_setvskip 0, 0                                            // 000000005B6C: BF108080
	s_setvskip s20, 4                                          // 000000005B70: BF108414
	global_atomic_pk_add_bf16 v88, v72, s[8:9]                 // 000000005B74: DD488000 00084858
	s_setvskip 0, 0                                            // 000000005B7C: BF108080
	s_setvskip s20, 4                                          // 000000005B80: BF108414
	global_atomic_pk_add_bf16 v88, v73, s[8:9] offset:256      // 000000005B84: DD488100 00084958
	s_setvskip 0, 0                                            // 000000005B8C: BF108080
	s_setvskip s20, 5                                          // 000000005B90: BF108514
	global_atomic_pk_add_bf16 v90, v74, s[8:9]                 // 000000005B94: DD488000 00084A5A
	s_setvskip 0, 0                                            // 000000005B9C: BF108080
	s_setvskip s20, 5                                          // 000000005BA0: BF108514
	global_atomic_pk_add_bf16 v90, v75, s[8:9] offset:256      // 000000005BA4: DD488100 00084B5A
	s_setvskip 0, 0                                            // 000000005BAC: BF108080
	s_setvskip s20, 6                                          // 000000005BB0: BF108614
	global_atomic_pk_add_bf16 v92, v76, s[8:9]                 // 000000005BB4: DD488000 00084C5C
	s_setvskip 0, 0                                            // 000000005BBC: BF108080
	s_setvskip s20, 6                                          // 000000005BC0: BF108614
	global_atomic_pk_add_bf16 v92, v77, s[8:9] offset:256      // 000000005BC4: DD488100 00084D5C
	s_setvskip 0, 0                                            // 000000005BCC: BF108080
	s_setvskip s20, 7                                          // 000000005BD0: BF108714
	global_atomic_pk_add_bf16 v94, v78, s[8:9]                 // 000000005BD4: DD488000 00084E5E
	s_setvskip 0, 0                                            // 000000005BDC: BF108080
	s_setvskip s20, 7                                          // 000000005BE0: BF108714
	global_atomic_pk_add_bf16 v94, v79, s[8:9] offset:256      // 000000005BE4: DD488100 00084F5E
	s_setvskip 0, 0                                            // 000000005BEC: BF108080
	s_add_u32 s8, s55, s8                                      // 000000005BF0: 80080837
	s_addc_u32 s9, 0, s9                                       // 000000005BF4: 82090980
	s_addk_i32 s76, 0x100                                      // 000000005BF8: B74C0100
	s_cmp_lt_i32 s76, s77                                      // 000000005BFC: BF044D4C
	s_cbranch_scc0 label_0B82                                  // 000000005C00: BF840001
	s_branch label_08B1                                        // 000000005C04: BF82FD2F

0000000000005c08 <label_0B82>:
	s_nop 0                                                    // 000000005C08: BF800000
	s_nop 0                                                    // 000000005C0C: BF800000
	s_branch label_141D                                        // 000000005C10: BF820898

0000000000005c14 <label_0B85>:
	s_waitcnt vmcnt(12) lgkmcnt(0)                             // 000000005C14: BF8C007C
	s_barrier                                                  // 000000005C18: BF8A0000
	v_mfma_f32_16x16x128_f8f6f4 v[128:131], a[0:7], a[128:135], 0// 000000005C1C: D3AD0080 1A030100
	buffer_load_dwordx4 v35, s[20:23], 0 offen lds             // 000000005C24: E05D1000 80050023
	s_add_u32 m0, 0x1080, s49                                  // 000000005C2C: 807C31FF 00001080
	buffer_load_dwordx4 v36, s[20:23], 0 offen lds             // 000000005C34: E05D1000 80050024
	s_add_u32 m0, m0, s72                                      // 000000005C3C: 807C487C
	buffer_load_dword v9, s[28:31], 0 offen lds                // 000000005C40: E0511000 80070009
	s_add_u32 m0, 0, s48                                       // 000000005C48: 807C3080
	buffer_load_dword v30, v19, s[32:35], 0 offen              // 000000005C4C: E0501000 80081E13
	buffer_load_dwordx4 a[64:67], v39, s[96:99], 0 offen       // 000000005C54: E05C1000 80984027
	buffer_load_dwordx4 a[68:71], v39, s[96:99], 0 offen offset:1024// 000000005C5C: E05C1400 80984427
	v_mfma_f32_16x16x128_f8f6f4 v[132:135], a[0:7], a[144:151], 0// 000000005C64: D3AD0084 1A032100
	v_mfma_f32_16x16x128_f8f6f4 v[136:139], a[8:15], a[128:135], 0// 000000005C6C: D3AD0088 1A030108
	buffer_load_dwordx4 a[72:75], v40, s[96:99], 0 offen       // 000000005C74: E05C1000 80984828
	buffer_load_dwordx4 a[76:79], v40, s[96:99], 0 offen offset:1024// 000000005C7C: E05C1400 80984C28
	v_mfma_f32_16x16x128_f8f6f4 v[140:143], a[8:15], a[144:151], 0// 000000005C84: D3AD008C 1A032108
	s_waitcnt vmcnt(16)                                        // 000000005C8C: BF8C4F70
	v_mfma_f32_16x16x128_f8f6f4 v[144:147], a[16:23], a[128:135], 0// 000000005C90: D3AD0090 1A030110
	buffer_load_dwordx4 a[80:83], v41, s[96:99], 0 offen       // 000000005C98: E05C1000 80985029
	buffer_load_dwordx4 a[84:87], v41, s[96:99], 0 offen offset:1024// 000000005CA0: E05C1400 80985429
	v_mfma_f32_16x16x128_f8f6f4 v[148:151], a[16:23], a[144:151], 0// 000000005CA8: D3AD0094 1A032110
	v_mfma_f32_16x16x128_f8f6f4 v[152:155], a[24:31], a[128:135], 0// 000000005CB0: D3AD0098 1A030118
	buffer_load_dwordx4 a[88:91], v42, s[96:99], 0 offen       // 000000005CB8: E05C1000 8098582A
	buffer_load_dwordx4 a[92:95], v42, s[96:99], 0 offen offset:1024// 000000005CC0: E05C1400 80985C2A
	v_mfma_f32_16x16x128_f8f6f4 v[156:159], a[24:31], a[144:151], 0// 000000005CC8: D3AD009C 1A032118
	v_mul_f32_dpp v52, v29, v21 row_newbcast:0 row_mask:0xf bank_mask:0xf// 000000005CD0: 0A682AFA FF01501D
	v_mov_b32_e32 v53, v52                                     // 000000005CD8: 7E6A0334
	v_pk_fma_f32 v[64:65], v[128:129], v[52:53], v[64:65]      // 000000005CDC: D3B04040 1D026980
	v_pk_fma_f32 v[66:67], v[130:131], v[52:53], v[66:67]      // 000000005CE4: D3B04042 1D0A6982
	v_pk_fma_f32 v[72:73], v[136:137], v[52:53], v[72:73]      // 000000005CEC: D3B04048 1D226988
	v_pk_fma_f32 v[74:75], v[138:139], v[52:53], v[74:75]      // 000000005CF4: D3B0404A 1D2A698A
	v_mul_f32_dpp v52, v29, v21 row_newbcast:1 row_mask:0xf bank_mask:0xf// 000000005CFC: 0A682AFA FF01511D
	v_mov_b32_e32 v53, v52                                     // 000000005D04: 7E6A0334
	v_pk_fma_f32 v[80:81], v[144:145], v[52:53], v[80:81]      // 000000005D08: D3B04050 1D426990
	v_pk_fma_f32 v[82:83], v[146:147], v[52:53], v[82:83]      // 000000005D10: D3B04052 1D4A6992
	v_pk_fma_f32 v[88:89], v[152:153], v[52:53], v[88:89]      // 000000005D18: D3B04058 1D626998
	v_pk_fma_f32 v[90:91], v[154:155], v[52:53], v[90:91]      // 000000005D20: D3B0405A 1D6A699A
	v_mul_f32_dpp v52, v29, v22 row_newbcast:0 row_mask:0xf bank_mask:0xf// 000000005D28: 0A682CFA FF01501D
	v_mov_b32_e32 v53, v52                                     // 000000005D30: 7E6A0334
	v_pk_fma_f32 v[68:69], v[132:133], v[52:53], v[68:69]      // 000000005D34: D3B04044 1D126984
	v_pk_fma_f32 v[70:71], v[134:135], v[52:53], v[70:71]      // 000000005D3C: D3B04046 1D1A6986
	v_pk_fma_f32 v[76:77], v[140:141], v[52:53], v[76:77]      // 000000005D44: D3B0404C 1D32698C
	v_pk_fma_f32 v[78:79], v[142:143], v[52:53], v[78:79]      // 000000005D4C: D3B0404E 1D3A698E
	v_mul_f32_dpp v52, v29, v22 row_newbcast:1 row_mask:0xf bank_mask:0xf// 000000005D54: 0A682CFA FF01511D
	v_mov_b32_e32 v53, v52                                     // 000000005D5C: 7E6A0334
	v_pk_fma_f32 v[84:85], v[148:149], v[52:53], v[84:85]      // 000000005D60: D3B04054 1D526994
	v_pk_fma_f32 v[86:87], v[150:151], v[52:53], v[86:87]      // 000000005D68: D3B04056 1D5A6996
	v_pk_fma_f32 v[92:93], v[156:157], v[52:53], v[92:93]      // 000000005D70: D3B0405C 1D72699C
	v_pk_fma_f32 v[94:95], v[158:159], v[52:53], v[94:95]      // 000000005D78: D3B0405E 1D7A699E
	s_waitcnt vmcnt(16)                                        // 000000005D80: BF8C4F70
	v_mfma_f32_16x16x128_f8f6f4 v[128:131], a[32:39], a[136:143], 0// 000000005D84: D3AD0080 1A031120
	buffer_load_dwordx4 a[96:99], v39, s[96:99], 0 offen offset:2048// 000000005D8C: E05C1800 80986027
	buffer_load_dwordx4 a[100:103], v39, s[96:99], 0 offen offset:3072// 000000005D94: E05C1C00 80986427
	v_mfma_f32_16x16x128_f8f6f4 v[132:135], a[32:39], a[152:159], 0// 000000005D9C: D3AD0084 1A033120
	v_mfma_f32_16x16x128_f8f6f4 v[136:139], a[40:47], a[136:143], 0// 000000005DA4: D3AD0088 1A031128
	buffer_load_dwordx4 a[104:107], v40, s[96:99], 0 offen offset:2048// 000000005DAC: E05C1800 80986828
	buffer_load_dwordx4 a[108:111], v40, s[96:99], 0 offen offset:3072// 000000005DB4: E05C1C00 80986C28
	v_mfma_f32_16x16x128_f8f6f4 v[140:143], a[40:47], a[152:159], 0// 000000005DBC: D3AD008C 1A033128
	s_waitcnt vmcnt(16)                                        // 000000005DC4: BF8C4F70
	v_mfma_f32_16x16x128_f8f6f4 v[144:147], a[48:55], a[136:143], 0// 000000005DC8: D3AD0090 1A031130
	buffer_load_dwordx4 a[112:115], v41, s[96:99], 0 offen offset:2048// 000000005DD0: E05C1800 80987029
	buffer_load_dwordx4 a[116:119], v41, s[96:99], 0 offen offset:3072// 000000005DD8: E05C1C00 80987429
	v_mfma_f32_16x16x128_f8f6f4 v[148:151], a[48:55], a[152:159], 0// 000000005DE0: D3AD0094 1A033130
	v_mfma_f32_16x16x128_f8f6f4 v[152:155], a[56:63], a[136:143], 0// 000000005DE8: D3AD0098 1A031138
	buffer_load_dwordx4 a[120:123], v42, s[96:99], 0 offen offset:2048// 000000005DF0: E05C1800 8098782A
	buffer_load_dwordx4 a[124:127], v42, s[96:99], 0 offen offset:3072// 000000005DF8: E05C1C00 80987C2A
	v_mfma_f32_16x16x128_f8f6f4 v[156:159], a[56:63], a[152:159], 0// 000000005E00: D3AD009C 1A033138
	v_mul_f32_dpp v52, v29, v23 row_newbcast:2 row_mask:0xf bank_mask:0xf// 000000005E08: 0A682EFA FF01521D
	v_mov_b32_e32 v53, v52                                     // 000000005E10: 7E6A0334
	v_pk_fma_f32 v[64:65], v[128:129], v[52:53], v[64:65]      // 000000005E14: D3B04040 1D026980
	v_pk_fma_f32 v[66:67], v[130:131], v[52:53], v[66:67]      // 000000005E1C: D3B04042 1D0A6982
	v_pk_fma_f32 v[72:73], v[136:137], v[52:53], v[72:73]      // 000000005E24: D3B04048 1D226988
	v_pk_fma_f32 v[74:75], v[138:139], v[52:53], v[74:75]      // 000000005E2C: D3B0404A 1D2A698A
	v_mul_f32_dpp v52, v29, v23 row_newbcast:3 row_mask:0xf bank_mask:0xf// 000000005E34: 0A682EFA FF01531D
	v_mov_b32_e32 v53, v52                                     // 000000005E3C: 7E6A0334
	v_pk_fma_f32 v[80:81], v[144:145], v[52:53], v[80:81]      // 000000005E40: D3B04050 1D426990
	v_pk_fma_f32 v[82:83], v[146:147], v[52:53], v[82:83]      // 000000005E48: D3B04052 1D4A6992
	v_pk_fma_f32 v[88:89], v[152:153], v[52:53], v[88:89]      // 000000005E50: D3B04058 1D626998
	v_pk_fma_f32 v[90:91], v[154:155], v[52:53], v[90:91]      // 000000005E58: D3B0405A 1D6A699A
	v_mul_f32_dpp v52, v29, v24 row_newbcast:2 row_mask:0xf bank_mask:0xf// 000000005E60: 0A6830FA FF01521D
	v_mov_b32_e32 v53, v52                                     // 000000005E68: 7E6A0334
	v_pk_fma_f32 v[68:69], v[132:133], v[52:53], v[68:69]      // 000000005E6C: D3B04044 1D126984
	v_pk_fma_f32 v[70:71], v[134:135], v[52:53], v[70:71]      // 000000005E74: D3B04046 1D1A6986
	v_pk_fma_f32 v[76:77], v[140:141], v[52:53], v[76:77]      // 000000005E7C: D3B0404C 1D32698C
	v_pk_fma_f32 v[78:79], v[142:143], v[52:53], v[78:79]      // 000000005E84: D3B0404E 1D3A698E
	v_mul_f32_dpp v52, v29, v24 row_newbcast:3 row_mask:0xf bank_mask:0xf// 000000005E8C: 0A6830FA FF01531D
	v_mov_b32_e32 v53, v52                                     // 000000005E94: 7E6A0334
	v_pk_fma_f32 v[84:85], v[148:149], v[52:53], v[84:85]      // 000000005E98: D3B04054 1D526994
	v_pk_fma_f32 v[86:87], v[150:151], v[52:53], v[86:87]      // 000000005EA0: D3B04056 1D5A6996
	v_pk_fma_f32 v[92:93], v[156:157], v[52:53], v[92:93]      // 000000005EA8: D3B0405C 1D72699C
	v_pk_fma_f32 v[94:95], v[158:159], v[52:53], v[94:95]      // 000000005EB0: D3B0405E 1D7A699E
	s_add_u32 s56, 0x100, s76                                  // 000000005EB8: 80384CFF 00000100
	s_cmp_lt_u32 s56, s77                                      // 000000005EC0: BF0A4D38
	s_cselect_b32 s4, s4, 0                                    // 000000005EC4: 85048004
	s_add_u32 s32, s4, s32                                     // 000000005EC8: 80202004
	s_addc_u32 s33, 0, s33                                     // 000000005ECC: 82212180
	s_waitcnt vmcnt(12)                                        // 000000005ED0: BF8C0F7C
	s_barrier                                                  // 000000005ED4: BF8A0000
	v_mfma_f32_16x16x128_f8f6f4 v[128:131], a[64:71], a[128:135], 0// 000000005ED8: D3AD0080 1A030140
	buffer_load_dword v29, v17, s[32:35], 0 offen              // 000000005EE0: E0501000 80081D11
	buffer_load_dwordx4 a[0:3], v39, s[24:27], 0 offen         // 000000005EE8: E05C1000 80860027
	buffer_load_dwordx4 a[4:7], v39, s[24:27], 0 offen offset:1024// 000000005EF0: E05C1400 80860427
	v_mfma_f32_16x16x128_f8f6f4 v[132:135], a[64:71], a[144:151], 0// 000000005EF8: D3AD0084 1A032140
	v_mfma_f32_16x16x128_f8f6f4 v[136:139], a[72:79], a[128:135], 0// 000000005F00: D3AD0088 1A030148
	buffer_load_dwordx4 a[8:11], v40, s[24:27], 0 offen        // 000000005F08: E05C1000 80860828
	buffer_load_dwordx4 a[12:15], v40, s[24:27], 0 offen offset:1024// 000000005F10: E05C1400 80860C28
	v_mfma_f32_16x16x128_f8f6f4 v[140:143], a[72:79], a[144:151], 0// 000000005F18: D3AD008C 1A032148
	s_waitcnt vmcnt(13)                                        // 000000005F20: BF8C0F7D
	v_mfma_f32_16x16x128_f8f6f4 v[144:147], a[80:87], a[128:135], 0// 000000005F24: D3AD0090 1A030150
	buffer_load_dwordx4 a[16:19], v41, s[24:27], 0 offen       // 000000005F2C: E05C1000 80861029
	buffer_load_dwordx4 a[20:23], v41, s[24:27], 0 offen offset:1024// 000000005F34: E05C1400 80861429
	v_mfma_f32_16x16x128_f8f6f4 v[148:151], a[80:87], a[144:151], 0// 000000005F3C: D3AD0094 1A032150
	v_mfma_f32_16x16x128_f8f6f4 v[152:155], a[88:95], a[128:135], 0// 000000005F44: D3AD0098 1A030158
	buffer_load_dwordx4 a[24:27], v42, s[24:27], 0 offen       // 000000005F4C: E05C1000 8086182A
	buffer_load_dwordx4 a[28:31], v42, s[24:27], 0 offen offset:1024// 000000005F54: E05C1400 80861C2A
	v_mfma_f32_16x16x128_f8f6f4 v[156:159], a[88:95], a[144:151], 0// 000000005F5C: D3AD009C 1A032158
	v_mul_f32_dpp v52, v30, v21 row_newbcast:0 row_mask:0xf bank_mask:0xf// 000000005F64: 0A682AFA FF01501E
	v_mov_b32_e32 v53, v52                                     // 000000005F6C: 7E6A0334
	v_pk_fma_f32 v[96:97], v[128:129], v[52:53], v[96:97]      // 000000005F70: D3B04060 1D826980
	v_pk_fma_f32 v[98:99], v[130:131], v[52:53], v[98:99]      // 000000005F78: D3B04062 1D8A6982
	v_pk_fma_f32 v[104:105], v[136:137], v[52:53], v[104:105]  // 000000005F80: D3B04068 1DA26988
	v_pk_fma_f32 v[106:107], v[138:139], v[52:53], v[106:107]  // 000000005F88: D3B0406A 1DAA698A
	v_mul_f32_dpp v52, v30, v21 row_newbcast:1 row_mask:0xf bank_mask:0xf// 000000005F90: 0A682AFA FF01511E
	v_mov_b32_e32 v53, v52                                     // 000000005F98: 7E6A0334
	v_pk_fma_f32 v[112:113], v[144:145], v[52:53], v[112:113]  // 000000005F9C: D3B04070 1DC26990
	v_pk_fma_f32 v[114:115], v[146:147], v[52:53], v[114:115]  // 000000005FA4: D3B04072 1DCA6992
	v_pk_fma_f32 v[120:121], v[152:153], v[52:53], v[120:121]  // 000000005FAC: D3B04078 1DE26998
	v_pk_fma_f32 v[122:123], v[154:155], v[52:53], v[122:123]  // 000000005FB4: D3B0407A 1DEA699A
	v_mul_f32_dpp v52, v30, v22 row_newbcast:0 row_mask:0xf bank_mask:0xf// 000000005FBC: 0A682CFA FF01501E
	v_mov_b32_e32 v53, v52                                     // 000000005FC4: 7E6A0334
	v_pk_fma_f32 v[100:101], v[132:133], v[52:53], v[100:101]  // 000000005FC8: D3B04064 1D926984
	v_pk_fma_f32 v[102:103], v[134:135], v[52:53], v[102:103]  // 000000005FD0: D3B04066 1D9A6986
	v_pk_fma_f32 v[108:109], v[140:141], v[52:53], v[108:109]  // 000000005FD8: D3B0406C 1DB2698C
	v_pk_fma_f32 v[110:111], v[142:143], v[52:53], v[110:111]  // 000000005FE0: D3B0406E 1DBA698E
	v_mul_f32_dpp v52, v30, v22 row_newbcast:1 row_mask:0xf bank_mask:0xf// 000000005FE8: 0A682CFA FF01511E
	v_mov_b32_e32 v53, v52                                     // 000000005FF0: 7E6A0334
	v_pk_fma_f32 v[116:117], v[148:149], v[52:53], v[116:117]  // 000000005FF4: D3B04074 1DD26994
	v_pk_fma_f32 v[118:119], v[150:151], v[52:53], v[118:119]  // 000000005FFC: D3B04076 1DDA6996
	v_pk_fma_f32 v[124:125], v[156:157], v[52:53], v[124:125]  // 000000006004: D3B0407C 1DF2699C
	v_pk_fma_f32 v[126:127], v[158:159], v[52:53], v[126:127]  // 00000000600C: D3B0407E 1DFA699E
	s_waitcnt vmcnt(13)                                        // 000000006014: BF8C0F7D
	v_mfma_f32_16x16x128_f8f6f4 v[128:131], a[96:103], a[136:143], 0// 000000006018: D3AD0080 1A031160
	buffer_load_dwordx4 a[32:35], v39, s[24:27], 0 offen offset:2048// 000000006020: E05C1800 80862027
	buffer_load_dwordx4 a[36:39], v39, s[24:27], 0 offen offset:3072// 000000006028: E05C1C00 80862427
	v_mfma_f32_16x16x128_f8f6f4 v[132:135], a[96:103], a[152:159], 0// 000000006030: D3AD0084 1A033160
	ds_read_b128 a[160:163], v2 offset:9472                    // 000000006038: DBFE2500 A0000002
	ds_read_b128 a[164:167], v2 offset:9536                    // 000000006040: DBFE2540 A4000002
	ds_read_b32 v25, v3 offset:17920                           // 000000006048: D86C4600 19000003
	v_mfma_f32_16x16x128_f8f6f4 v[136:139], a[104:111], a[136:143], 0// 000000006050: D3AD0088 1A031168
	buffer_load_dwordx4 a[40:43], v40, s[24:27], 0 offen offset:2048// 000000006058: E05C1800 80862828
	buffer_load_dwordx4 a[44:47], v40, s[24:27], 0 offen offset:3072// 000000006060: E05C1C00 80862C28
	v_mfma_f32_16x16x128_f8f6f4 v[140:143], a[104:111], a[152:159], 0// 000000006068: D3AD008C 1A033168
	ds_read_b128 a[168:171], v2 offset:13696                   // 000000006070: DBFE3580 A8000002
	ds_read_b128 a[172:175], v2 offset:13760                   // 000000006078: DBFE35C0 AC000002
	ds_read_b32 v26, v3 offset:18176                           // 000000006080: D86C4700 1A000003
	s_waitcnt vmcnt(13)                                        // 000000006088: BF8C0F7D
	v_mfma_f32_16x16x128_f8f6f4 v[144:147], a[112:119], a[136:143], 0// 00000000608C: D3AD0090 1A031170
	buffer_load_dwordx4 a[48:51], v41, s[24:27], 0 offen offset:2048// 000000006094: E05C1800 80863029
	buffer_load_dwordx4 a[52:55], v41, s[24:27], 0 offen offset:3072// 00000000609C: E05C1C00 80863429
	v_mfma_f32_16x16x128_f8f6f4 v[148:151], a[112:119], a[152:159], 0// 0000000060A4: D3AD0094 1A033170
	ds_read_b128 a[176:179], v2 offset:9984                    // 0000000060AC: DBFE2700 B0000002
	ds_read_b128 a[180:183], v2 offset:10048                   // 0000000060B4: DBFE2740 B4000002
	ds_read_b32 v27, v3 offset:18432                           // 0000000060BC: D86C4800 1B000003
	v_mfma_f32_16x16x128_f8f6f4 v[152:155], a[120:127], a[136:143], 0// 0000000060C4: D3AD0098 1A031178
	buffer_load_dwordx4 a[56:59], v42, s[24:27], 0 offen offset:2048// 0000000060CC: E05C1800 8086382A
	buffer_load_dwordx4 a[60:63], v42, s[24:27], 0 offen offset:3072// 0000000060D4: E05C1C00 80863C2A
	v_mfma_f32_16x16x128_f8f6f4 v[156:159], a[120:127], a[152:159], 0// 0000000060DC: D3AD009C 1A033178
	ds_read_b128 a[184:187], v2 offset:14208                   // 0000000060E4: DBFE3780 B8000002
	ds_read_b128 a[188:191], v2 offset:14272                   // 0000000060EC: DBFE37C0 BC000002
	ds_read_b32 v28, v3 offset:18688                           // 0000000060F4: D86C4900 1C000003
	v_mul_f32_dpp v52, v30, v23 row_newbcast:2 row_mask:0xf bank_mask:0xf// 0000000060FC: 0A682EFA FF01521E
	v_mov_b32_e32 v53, v52                                     // 000000006104: 7E6A0334
	v_pk_fma_f32 v[96:97], v[128:129], v[52:53], v[96:97]      // 000000006108: D3B04060 1D826980
	v_pk_fma_f32 v[98:99], v[130:131], v[52:53], v[98:99]      // 000000006110: D3B04062 1D8A6982
	v_pk_fma_f32 v[104:105], v[136:137], v[52:53], v[104:105]  // 000000006118: D3B04068 1DA26988
	v_pk_fma_f32 v[106:107], v[138:139], v[52:53], v[106:107]  // 000000006120: D3B0406A 1DAA698A
	v_mul_f32_dpp v52, v30, v23 row_newbcast:3 row_mask:0xf bank_mask:0xf// 000000006128: 0A682EFA FF01531E
	v_mov_b32_e32 v53, v52                                     // 000000006130: 7E6A0334
	v_pk_fma_f32 v[112:113], v[144:145], v[52:53], v[112:113]  // 000000006134: D3B04070 1DC26990
	v_pk_fma_f32 v[114:115], v[146:147], v[52:53], v[114:115]  // 00000000613C: D3B04072 1DCA6992
	v_pk_fma_f32 v[120:121], v[152:153], v[52:53], v[120:121]  // 000000006144: D3B04078 1DE26998
	v_pk_fma_f32 v[122:123], v[154:155], v[52:53], v[122:123]  // 00000000614C: D3B0407A 1DEA699A
	v_mul_f32_dpp v52, v30, v24 row_newbcast:2 row_mask:0xf bank_mask:0xf// 000000006154: 0A6830FA FF01521E
	v_mov_b32_e32 v53, v52                                     // 00000000615C: 7E6A0334
	v_pk_fma_f32 v[100:101], v[132:133], v[52:53], v[100:101]  // 000000006160: D3B04064 1D926984
	v_pk_fma_f32 v[102:103], v[134:135], v[52:53], v[102:103]  // 000000006168: D3B04066 1D9A6986
	v_pk_fma_f32 v[108:109], v[140:141], v[52:53], v[108:109]  // 000000006170: D3B0406C 1DB2698C
	v_pk_fma_f32 v[110:111], v[142:143], v[52:53], v[110:111]  // 000000006178: D3B0406E 1DBA698E
	v_mul_f32_dpp v52, v30, v24 row_newbcast:3 row_mask:0xf bank_mask:0xf// 000000006180: 0A6830FA FF01531E
	v_mov_b32_e32 v53, v52                                     // 000000006188: 7E6A0334
	v_pk_fma_f32 v[116:117], v[148:149], v[52:53], v[116:117]  // 00000000618C: D3B04074 1DD26994
	v_pk_fma_f32 v[118:119], v[150:151], v[52:53], v[118:119]  // 000000006194: D3B04076 1DDA6996
	v_pk_fma_f32 v[124:125], v[156:157], v[52:53], v[124:125]  // 00000000619C: D3B0407C 1DF2699C
	v_pk_fma_f32 v[126:127], v[158:159], v[52:53], v[126:127]  // 0000000061A4: D3B0407E 1DFA699E
	s_add_u32 s56, 0x200, s76                                  // 0000000061AC: 80384CFF 00000200
	s_cmp_lt_u32 s56, s77                                      // 0000000061B4: BF0A4D38
	s_cselect_b32 s53, s53, 0                                  // 0000000061B8: 85358035
	s_cselect_b32 s3, s3, 0                                    // 0000000061BC: 85038003
	s_add_u32 s56, 0x200, s76                                  // 0000000061C0: 80384CFF 00000200
	s_cmp_lt_u32 s56, s77                                      // 0000000061C8: BF0A4D38
	s_cselect_b32 s54, s54, 0                                  // 0000000061CC: 85368036
	s_add_u32 s20, s53, s20                                    // 0000000061D0: 80141435
	s_addc_u32 s21, 0, s21                                     // 0000000061D4: 82151580
	s_add_u32 s28, s3, s28                                     // 0000000061D8: 801C1C03
	s_addc_u32 s29, 0, s29                                     // 0000000061DC: 821D1D80
	s_add_u32 s24, s54, s24                                    // 0000000061E0: 80181836
	s_addc_u32 s25, 0, s25                                     // 0000000061E4: 82191980
	s_add_u32 s96, s94, s96                                    // 0000000061E8: 8060605E
	s_addc_u32 s97, 0, s97                                     // 0000000061EC: 82616180
	s_addk_i32 s76, 0x100                                      // 0000000061F0: B74C0100
	s_cmp_lt_i32 s76, s77                                      // 0000000061F4: BF044D4C
	s_cbranch_scc0 label_0E7A                                  // 0000000061F8: BF84017B
	s_waitcnt vmcnt(12) lgkmcnt(0)                             // 0000000061FC: BF8C007C
	s_barrier                                                  // 000000006200: BF8A0000
	v_mfma_f32_16x16x128_f8f6f4 v[128:131], a[0:7], a[160:167], 0// 000000006204: D3AD0080 1A034100
	buffer_load_dwordx4 v35, s[20:23], 0 offen lds             // 00000000620C: E05D1000 80050023
	s_add_u32 m0, 0x1080, s48                                  // 000000006214: 807C30FF 00001080
	buffer_load_dwordx4 v36, s[20:23], 0 offen lds             // 00000000621C: E05D1000 80050024
	s_add_u32 m0, m0, s72                                      // 000000006224: 807C487C
	buffer_load_dword v9, s[28:31], 0 offen lds                // 000000006228: E0511000 80070009
	s_add_u32 m0, 0, s49                                       // 000000006230: 807C3180
	buffer_load_dword v30, v19, s[32:35], 0 offen              // 000000006234: E0501000 80081E13
	buffer_load_dwordx4 a[64:67], v39, s[96:99], 0 offen       // 00000000623C: E05C1000 80984027
	buffer_load_dwordx4 a[68:71], v39, s[96:99], 0 offen offset:1024// 000000006244: E05C1400 80984427
	v_mfma_f32_16x16x128_f8f6f4 v[132:135], a[0:7], a[176:183], 0// 00000000624C: D3AD0084 1A036100
	v_mfma_f32_16x16x128_f8f6f4 v[136:139], a[8:15], a[160:167], 0// 000000006254: D3AD0088 1A034108
	buffer_load_dwordx4 a[72:75], v40, s[96:99], 0 offen       // 00000000625C: E05C1000 80984828
	buffer_load_dwordx4 a[76:79], v40, s[96:99], 0 offen offset:1024// 000000006264: E05C1400 80984C28
	v_mfma_f32_16x16x128_f8f6f4 v[140:143], a[8:15], a[176:183], 0// 00000000626C: D3AD008C 1A036108
	s_waitcnt vmcnt(16)                                        // 000000006274: BF8C4F70
	v_mfma_f32_16x16x128_f8f6f4 v[144:147], a[16:23], a[160:167], 0// 000000006278: D3AD0090 1A034110
	buffer_load_dwordx4 a[80:83], v41, s[96:99], 0 offen       // 000000006280: E05C1000 80985029
	buffer_load_dwordx4 a[84:87], v41, s[96:99], 0 offen offset:1024// 000000006288: E05C1400 80985429
	v_mfma_f32_16x16x128_f8f6f4 v[148:151], a[16:23], a[176:183], 0// 000000006290: D3AD0094 1A036110
	v_mfma_f32_16x16x128_f8f6f4 v[152:155], a[24:31], a[160:167], 0// 000000006298: D3AD0098 1A034118
	buffer_load_dwordx4 a[88:91], v42, s[96:99], 0 offen       // 0000000062A0: E05C1000 8098582A
	buffer_load_dwordx4 a[92:95], v42, s[96:99], 0 offen offset:1024// 0000000062A8: E05C1400 80985C2A
	v_mfma_f32_16x16x128_f8f6f4 v[156:159], a[24:31], a[176:183], 0// 0000000062B0: D3AD009C 1A036118
	v_mul_f32_dpp v52, v29, v25 row_newbcast:0 row_mask:0xf bank_mask:0xf// 0000000062B8: 0A6832FA FF01501D
	v_mov_b32_e32 v53, v52                                     // 0000000062C0: 7E6A0334
	v_pk_fma_f32 v[64:65], v[128:129], v[52:53], v[64:65]      // 0000000062C4: D3B04040 1D026980
	v_pk_fma_f32 v[66:67], v[130:131], v[52:53], v[66:67]      // 0000000062CC: D3B04042 1D0A6982
	v_pk_fma_f32 v[72:73], v[136:137], v[52:53], v[72:73]      // 0000000062D4: D3B04048 1D226988
	v_pk_fma_f32 v[74:75], v[138:139], v[52:53], v[74:75]      // 0000000062DC: D3B0404A 1D2A698A
	v_mul_f32_dpp v52, v29, v25 row_newbcast:1 row_mask:0xf bank_mask:0xf// 0000000062E4: 0A6832FA FF01511D
	v_mov_b32_e32 v53, v52                                     // 0000000062EC: 7E6A0334
	v_pk_fma_f32 v[80:81], v[144:145], v[52:53], v[80:81]      // 0000000062F0: D3B04050 1D426990
	v_pk_fma_f32 v[82:83], v[146:147], v[52:53], v[82:83]      // 0000000062F8: D3B04052 1D4A6992
	v_pk_fma_f32 v[88:89], v[152:153], v[52:53], v[88:89]      // 000000006300: D3B04058 1D626998
	v_pk_fma_f32 v[90:91], v[154:155], v[52:53], v[90:91]      // 000000006308: D3B0405A 1D6A699A
	v_mul_f32_dpp v52, v29, v26 row_newbcast:0 row_mask:0xf bank_mask:0xf// 000000006310: 0A6834FA FF01501D
	v_mov_b32_e32 v53, v52                                     // 000000006318: 7E6A0334
	v_pk_fma_f32 v[68:69], v[132:133], v[52:53], v[68:69]      // 00000000631C: D3B04044 1D126984
	v_pk_fma_f32 v[70:71], v[134:135], v[52:53], v[70:71]      // 000000006324: D3B04046 1D1A6986
	v_pk_fma_f32 v[76:77], v[140:141], v[52:53], v[76:77]      // 00000000632C: D3B0404C 1D32698C
	v_pk_fma_f32 v[78:79], v[142:143], v[52:53], v[78:79]      // 000000006334: D3B0404E 1D3A698E
	v_mul_f32_dpp v52, v29, v26 row_newbcast:1 row_mask:0xf bank_mask:0xf// 00000000633C: 0A6834FA FF01511D
	v_mov_b32_e32 v53, v52                                     // 000000006344: 7E6A0334
	v_pk_fma_f32 v[84:85], v[148:149], v[52:53], v[84:85]      // 000000006348: D3B04054 1D526994
	v_pk_fma_f32 v[86:87], v[150:151], v[52:53], v[86:87]      // 000000006350: D3B04056 1D5A6996
	v_pk_fma_f32 v[92:93], v[156:157], v[52:53], v[92:93]      // 000000006358: D3B0405C 1D72699C
	v_pk_fma_f32 v[94:95], v[158:159], v[52:53], v[94:95]      // 000000006360: D3B0405E 1D7A699E
	s_waitcnt vmcnt(16)                                        // 000000006368: BF8C4F70
	v_mfma_f32_16x16x128_f8f6f4 v[128:131], a[32:39], a[168:175], 0// 00000000636C: D3AD0080 1A035120
	buffer_load_dwordx4 a[96:99], v39, s[96:99], 0 offen offset:2048// 000000006374: E05C1800 80986027
	buffer_load_dwordx4 a[100:103], v39, s[96:99], 0 offen offset:3072// 00000000637C: E05C1C00 80986427
	v_mfma_f32_16x16x128_f8f6f4 v[132:135], a[32:39], a[184:191], 0// 000000006384: D3AD0084 1A037120
	v_mfma_f32_16x16x128_f8f6f4 v[136:139], a[40:47], a[168:175], 0// 00000000638C: D3AD0088 1A035128
	buffer_load_dwordx4 a[104:107], v40, s[96:99], 0 offen offset:2048// 000000006394: E05C1800 80986828
	buffer_load_dwordx4 a[108:111], v40, s[96:99], 0 offen offset:3072// 00000000639C: E05C1C00 80986C28
	v_mfma_f32_16x16x128_f8f6f4 v[140:143], a[40:47], a[184:191], 0// 0000000063A4: D3AD008C 1A037128
	s_waitcnt vmcnt(16)                                        // 0000000063AC: BF8C4F70
	v_mfma_f32_16x16x128_f8f6f4 v[144:147], a[48:55], a[168:175], 0// 0000000063B0: D3AD0090 1A035130
	buffer_load_dwordx4 a[112:115], v41, s[96:99], 0 offen offset:2048// 0000000063B8: E05C1800 80987029
	buffer_load_dwordx4 a[116:119], v41, s[96:99], 0 offen offset:3072// 0000000063C0: E05C1C00 80987429
	v_mfma_f32_16x16x128_f8f6f4 v[148:151], a[48:55], a[184:191], 0// 0000000063C8: D3AD0094 1A037130
	v_mfma_f32_16x16x128_f8f6f4 v[152:155], a[56:63], a[168:175], 0// 0000000063D0: D3AD0098 1A035138
	buffer_load_dwordx4 a[120:123], v42, s[96:99], 0 offen offset:2048// 0000000063D8: E05C1800 8098782A
	buffer_load_dwordx4 a[124:127], v42, s[96:99], 0 offen offset:3072// 0000000063E0: E05C1C00 80987C2A
	v_mfma_f32_16x16x128_f8f6f4 v[156:159], a[56:63], a[184:191], 0// 0000000063E8: D3AD009C 1A037138
	v_mul_f32_dpp v52, v29, v27 row_newbcast:2 row_mask:0xf bank_mask:0xf// 0000000063F0: 0A6836FA FF01521D
	v_mov_b32_e32 v53, v52                                     // 0000000063F8: 7E6A0334
	v_pk_fma_f32 v[64:65], v[128:129], v[52:53], v[64:65]      // 0000000063FC: D3B04040 1D026980
	v_pk_fma_f32 v[66:67], v[130:131], v[52:53], v[66:67]      // 000000006404: D3B04042 1D0A6982
	v_pk_fma_f32 v[72:73], v[136:137], v[52:53], v[72:73]      // 00000000640C: D3B04048 1D226988
	v_pk_fma_f32 v[74:75], v[138:139], v[52:53], v[74:75]      // 000000006414: D3B0404A 1D2A698A
	v_mul_f32_dpp v52, v29, v27 row_newbcast:3 row_mask:0xf bank_mask:0xf// 00000000641C: 0A6836FA FF01531D
	v_mov_b32_e32 v53, v52                                     // 000000006424: 7E6A0334
	v_pk_fma_f32 v[80:81], v[144:145], v[52:53], v[80:81]      // 000000006428: D3B04050 1D426990
	v_pk_fma_f32 v[82:83], v[146:147], v[52:53], v[82:83]      // 000000006430: D3B04052 1D4A6992
	v_pk_fma_f32 v[88:89], v[152:153], v[52:53], v[88:89]      // 000000006438: D3B04058 1D626998
	v_pk_fma_f32 v[90:91], v[154:155], v[52:53], v[90:91]      // 000000006440: D3B0405A 1D6A699A
	v_mul_f32_dpp v52, v29, v28 row_newbcast:2 row_mask:0xf bank_mask:0xf// 000000006448: 0A6838FA FF01521D
	v_mov_b32_e32 v53, v52                                     // 000000006450: 7E6A0334
	v_pk_fma_f32 v[68:69], v[132:133], v[52:53], v[68:69]      // 000000006454: D3B04044 1D126984
	v_pk_fma_f32 v[70:71], v[134:135], v[52:53], v[70:71]      // 00000000645C: D3B04046 1D1A6986
	v_pk_fma_f32 v[76:77], v[140:141], v[52:53], v[76:77]      // 000000006464: D3B0404C 1D32698C
	v_pk_fma_f32 v[78:79], v[142:143], v[52:53], v[78:79]      // 00000000646C: D3B0404E 1D3A698E
	v_mul_f32_dpp v52, v29, v28 row_newbcast:3 row_mask:0xf bank_mask:0xf// 000000006474: 0A6838FA FF01531D
	v_mov_b32_e32 v53, v52                                     // 00000000647C: 7E6A0334
	v_pk_fma_f32 v[84:85], v[148:149], v[52:53], v[84:85]      // 000000006480: D3B04054 1D526994
	v_pk_fma_f32 v[86:87], v[150:151], v[52:53], v[86:87]      // 000000006488: D3B04056 1D5A6996
	v_pk_fma_f32 v[92:93], v[156:157], v[52:53], v[92:93]      // 000000006490: D3B0405C 1D72699C
	v_pk_fma_f32 v[94:95], v[158:159], v[52:53], v[94:95]      // 000000006498: D3B0405E 1D7A699E
	s_add_u32 s56, 0x100, s76                                  // 0000000064A0: 80384CFF 00000100
	s_cmp_lt_u32 s56, s77                                      // 0000000064A8: BF0A4D38
	s_cselect_b32 s4, s4, 0                                    // 0000000064AC: 85048004
	s_add_u32 s32, s4, s32                                     // 0000000064B0: 80202004
	s_addc_u32 s33, 0, s33                                     // 0000000064B4: 82212180
	s_waitcnt vmcnt(12)                                        // 0000000064B8: BF8C0F7C
	s_barrier                                                  // 0000000064BC: BF8A0000
	v_mfma_f32_16x16x128_f8f6f4 v[128:131], a[64:71], a[160:167], 0// 0000000064C0: D3AD0080 1A034140
	buffer_load_dword v29, v17, s[32:35], 0 offen              // 0000000064C8: E0501000 80081D11
	buffer_load_dwordx4 a[0:3], v39, s[24:27], 0 offen         // 0000000064D0: E05C1000 80860027
	buffer_load_dwordx4 a[4:7], v39, s[24:27], 0 offen offset:1024// 0000000064D8: E05C1400 80860427
	v_mfma_f32_16x16x128_f8f6f4 v[132:135], a[64:71], a[176:183], 0// 0000000064E0: D3AD0084 1A036140
	v_mfma_f32_16x16x128_f8f6f4 v[136:139], a[72:79], a[160:167], 0// 0000000064E8: D3AD0088 1A034148
	buffer_load_dwordx4 a[8:11], v40, s[24:27], 0 offen        // 0000000064F0: E05C1000 80860828
	buffer_load_dwordx4 a[12:15], v40, s[24:27], 0 offen offset:1024// 0000000064F8: E05C1400 80860C28
	v_mfma_f32_16x16x128_f8f6f4 v[140:143], a[72:79], a[176:183], 0// 000000006500: D3AD008C 1A036148
	s_waitcnt vmcnt(13)                                        // 000000006508: BF8C0F7D
	v_mfma_f32_16x16x128_f8f6f4 v[144:147], a[80:87], a[160:167], 0// 00000000650C: D3AD0090 1A034150
	buffer_load_dwordx4 a[16:19], v41, s[24:27], 0 offen       // 000000006514: E05C1000 80861029
	buffer_load_dwordx4 a[20:23], v41, s[24:27], 0 offen offset:1024// 00000000651C: E05C1400 80861429
	v_mfma_f32_16x16x128_f8f6f4 v[148:151], a[80:87], a[176:183], 0// 000000006524: D3AD0094 1A036150
	v_mfma_f32_16x16x128_f8f6f4 v[152:155], a[88:95], a[160:167], 0// 00000000652C: D3AD0098 1A034158
	buffer_load_dwordx4 a[24:27], v42, s[24:27], 0 offen       // 000000006534: E05C1000 8086182A
	buffer_load_dwordx4 a[28:31], v42, s[24:27], 0 offen offset:1024// 00000000653C: E05C1400 80861C2A
	v_mfma_f32_16x16x128_f8f6f4 v[156:159], a[88:95], a[176:183], 0// 000000006544: D3AD009C 1A036158
	v_mul_f32_dpp v52, v30, v25 row_newbcast:0 row_mask:0xf bank_mask:0xf// 00000000654C: 0A6832FA FF01501E
	v_mov_b32_e32 v53, v52                                     // 000000006554: 7E6A0334
	v_pk_fma_f32 v[96:97], v[128:129], v[52:53], v[96:97]      // 000000006558: D3B04060 1D826980
	v_pk_fma_f32 v[98:99], v[130:131], v[52:53], v[98:99]      // 000000006560: D3B04062 1D8A6982
	v_pk_fma_f32 v[104:105], v[136:137], v[52:53], v[104:105]  // 000000006568: D3B04068 1DA26988
	v_pk_fma_f32 v[106:107], v[138:139], v[52:53], v[106:107]  // 000000006570: D3B0406A 1DAA698A
	v_mul_f32_dpp v52, v30, v25 row_newbcast:1 row_mask:0xf bank_mask:0xf// 000000006578: 0A6832FA FF01511E
	v_mov_b32_e32 v53, v52                                     // 000000006580: 7E6A0334
	v_pk_fma_f32 v[112:113], v[144:145], v[52:53], v[112:113]  // 000000006584: D3B04070 1DC26990
	v_pk_fma_f32 v[114:115], v[146:147], v[52:53], v[114:115]  // 00000000658C: D3B04072 1DCA6992
	v_pk_fma_f32 v[120:121], v[152:153], v[52:53], v[120:121]  // 000000006594: D3B04078 1DE26998
	v_pk_fma_f32 v[122:123], v[154:155], v[52:53], v[122:123]  // 00000000659C: D3B0407A 1DEA699A
	v_mul_f32_dpp v52, v30, v26 row_newbcast:0 row_mask:0xf bank_mask:0xf// 0000000065A4: 0A6834FA FF01501E
	v_mov_b32_e32 v53, v52                                     // 0000000065AC: 7E6A0334
	v_pk_fma_f32 v[100:101], v[132:133], v[52:53], v[100:101]  // 0000000065B0: D3B04064 1D926984
	v_pk_fma_f32 v[102:103], v[134:135], v[52:53], v[102:103]  // 0000000065B8: D3B04066 1D9A6986
	v_pk_fma_f32 v[108:109], v[140:141], v[52:53], v[108:109]  // 0000000065C0: D3B0406C 1DB2698C
	v_pk_fma_f32 v[110:111], v[142:143], v[52:53], v[110:111]  // 0000000065C8: D3B0406E 1DBA698E
	v_mul_f32_dpp v52, v30, v26 row_newbcast:1 row_mask:0xf bank_mask:0xf// 0000000065D0: 0A6834FA FF01511E
	v_mov_b32_e32 v53, v52                                     // 0000000065D8: 7E6A0334
	v_pk_fma_f32 v[116:117], v[148:149], v[52:53], v[116:117]  // 0000000065DC: D3B04074 1DD26994
	v_pk_fma_f32 v[118:119], v[150:151], v[52:53], v[118:119]  // 0000000065E4: D3B04076 1DDA6996
	v_pk_fma_f32 v[124:125], v[156:157], v[52:53], v[124:125]  // 0000000065EC: D3B0407C 1DF2699C
	v_pk_fma_f32 v[126:127], v[158:159], v[52:53], v[126:127]  // 0000000065F4: D3B0407E 1DFA699E
	s_waitcnt vmcnt(13)                                        // 0000000065FC: BF8C0F7D
	v_mfma_f32_16x16x128_f8f6f4 v[128:131], a[96:103], a[168:175], 0// 000000006600: D3AD0080 1A035160
	buffer_load_dwordx4 a[32:35], v39, s[24:27], 0 offen offset:2048// 000000006608: E05C1800 80862027
	buffer_load_dwordx4 a[36:39], v39, s[24:27], 0 offen offset:3072// 000000006610: E05C1C00 80862427
	v_mfma_f32_16x16x128_f8f6f4 v[132:135], a[96:103], a[184:191], 0// 000000006618: D3AD0084 1A037160
	ds_read_b128 a[128:131], v2                                // 000000006620: DBFE0000 80000002
	ds_read_b128 a[132:135], v2 offset:64                      // 000000006628: DBFE0040 84000002
	ds_read_b32 v21, v3 offset:8448                            // 000000006630: D86C2100 15000003
	v_mfma_f32_16x16x128_f8f6f4 v[136:139], a[104:111], a[168:175], 0// 000000006638: D3AD0088 1A035168
	buffer_load_dwordx4 a[40:43], v40, s[24:27], 0 offen offset:2048// 000000006640: E05C1800 80862828
	buffer_load_dwordx4 a[44:47], v40, s[24:27], 0 offen offset:3072// 000000006648: E05C1C00 80862C28
	v_mfma_f32_16x16x128_f8f6f4 v[140:143], a[104:111], a[184:191], 0// 000000006650: D3AD008C 1A037168
	ds_read_b128 a[136:139], v2 offset:4224                    // 000000006658: DBFE1080 88000002
	ds_read_b128 a[140:143], v2 offset:4288                    // 000000006660: DBFE10C0 8C000002
	ds_read_b32 v22, v3 offset:8704                            // 000000006668: D86C2200 16000003
	s_waitcnt vmcnt(13)                                        // 000000006670: BF8C0F7D
	v_mfma_f32_16x16x128_f8f6f4 v[144:147], a[112:119], a[168:175], 0// 000000006674: D3AD0090 1A035170
	buffer_load_dwordx4 a[48:51], v41, s[24:27], 0 offen offset:2048// 00000000667C: E05C1800 80863029
	buffer_load_dwordx4 a[52:55], v41, s[24:27], 0 offen offset:3072// 000000006684: E05C1C00 80863429
	v_mfma_f32_16x16x128_f8f6f4 v[148:151], a[112:119], a[184:191], 0// 00000000668C: D3AD0094 1A037170
	ds_read_b128 a[144:147], v2 offset:512                     // 000000006694: DBFE0200 90000002
	ds_read_b128 a[148:151], v2 offset:576                     // 00000000669C: DBFE0240 94000002
	ds_read_b32 v23, v3 offset:8960                            // 0000000066A4: D86C2300 17000003
	v_mfma_f32_16x16x128_f8f6f4 v[152:155], a[120:127], a[168:175], 0// 0000000066AC: D3AD0098 1A035178
	buffer_load_dwordx4 a[56:59], v42, s[24:27], 0 offen offset:2048// 0000000066B4: E05C1800 8086382A
	buffer_load_dwordx4 a[60:63], v42, s[24:27], 0 offen offset:3072// 0000000066BC: E05C1C00 80863C2A
	v_mfma_f32_16x16x128_f8f6f4 v[156:159], a[120:127], a[184:191], 0// 0000000066C4: D3AD009C 1A037178
	ds_read_b128 a[152:155], v2 offset:4736                    // 0000000066CC: DBFE1280 98000002
	ds_read_b128 a[156:159], v2 offset:4800                    // 0000000066D4: DBFE12C0 9C000002
	ds_read_b32 v24, v3 offset:9216                            // 0000000066DC: D86C2400 18000003
	v_mul_f32_dpp v52, v30, v27 row_newbcast:2 row_mask:0xf bank_mask:0xf// 0000000066E4: 0A6836FA FF01521E
	v_mov_b32_e32 v53, v52                                     // 0000000066EC: 7E6A0334
	v_pk_fma_f32 v[96:97], v[128:129], v[52:53], v[96:97]      // 0000000066F0: D3B04060 1D826980
	v_pk_fma_f32 v[98:99], v[130:131], v[52:53], v[98:99]      // 0000000066F8: D3B04062 1D8A6982
	v_pk_fma_f32 v[104:105], v[136:137], v[52:53], v[104:105]  // 000000006700: D3B04068 1DA26988
	v_pk_fma_f32 v[106:107], v[138:139], v[52:53], v[106:107]  // 000000006708: D3B0406A 1DAA698A
	v_mul_f32_dpp v52, v30, v27 row_newbcast:3 row_mask:0xf bank_mask:0xf// 000000006710: 0A6836FA FF01531E
	v_mov_b32_e32 v53, v52                                     // 000000006718: 7E6A0334
	v_pk_fma_f32 v[112:113], v[144:145], v[52:53], v[112:113]  // 00000000671C: D3B04070 1DC26990
	v_pk_fma_f32 v[114:115], v[146:147], v[52:53], v[114:115]  // 000000006724: D3B04072 1DCA6992
	v_pk_fma_f32 v[120:121], v[152:153], v[52:53], v[120:121]  // 00000000672C: D3B04078 1DE26998
	v_pk_fma_f32 v[122:123], v[154:155], v[52:53], v[122:123]  // 000000006734: D3B0407A 1DEA699A
	v_mul_f32_dpp v52, v30, v28 row_newbcast:2 row_mask:0xf bank_mask:0xf// 00000000673C: 0A6838FA FF01521E
	v_mov_b32_e32 v53, v52                                     // 000000006744: 7E6A0334
	v_pk_fma_f32 v[100:101], v[132:133], v[52:53], v[100:101]  // 000000006748: D3B04064 1D926984
	v_pk_fma_f32 v[102:103], v[134:135], v[52:53], v[102:103]  // 000000006750: D3B04066 1D9A6986
	v_pk_fma_f32 v[108:109], v[140:141], v[52:53], v[108:109]  // 000000006758: D3B0406C 1DB2698C
	v_pk_fma_f32 v[110:111], v[142:143], v[52:53], v[110:111]  // 000000006760: D3B0406E 1DBA698E
	v_mul_f32_dpp v52, v30, v28 row_newbcast:3 row_mask:0xf bank_mask:0xf// 000000006768: 0A6838FA FF01531E
	v_mov_b32_e32 v53, v52                                     // 000000006770: 7E6A0334
	v_pk_fma_f32 v[116:117], v[148:149], v[52:53], v[116:117]  // 000000006774: D3B04074 1DD26994
	v_pk_fma_f32 v[118:119], v[150:151], v[52:53], v[118:119]  // 00000000677C: D3B04076 1DDA6996
	v_pk_fma_f32 v[124:125], v[156:157], v[52:53], v[124:125]  // 000000006784: D3B0407C 1DF2699C
	v_pk_fma_f32 v[126:127], v[158:159], v[52:53], v[126:127]  // 00000000678C: D3B0407E 1DFA699E
	s_add_u32 s56, 0x200, s76                                  // 000000006794: 80384CFF 00000200
	s_cmp_lt_u32 s56, s77                                      // 00000000679C: BF0A4D38
	s_cselect_b32 s53, s53, 0                                  // 0000000067A0: 85358035
	s_cselect_b32 s3, s3, 0                                    // 0000000067A4: 85038003
	s_add_u32 s56, 0x200, s76                                  // 0000000067A8: 80384CFF 00000200
	s_cmp_lt_u32 s56, s77                                      // 0000000067B0: BF0A4D38
	s_cselect_b32 s54, s54, 0                                  // 0000000067B4: 85368036
	s_add_u32 s20, s53, s20                                    // 0000000067B8: 80141435
	s_addc_u32 s21, 0, s21                                     // 0000000067BC: 82151580
	s_add_u32 s28, s3, s28                                     // 0000000067C0: 801C1C03
	s_addc_u32 s29, 0, s29                                     // 0000000067C4: 821D1D80
	s_add_u32 s24, s54, s24                                    // 0000000067C8: 80181836
	s_addc_u32 s25, 0, s25                                     // 0000000067CC: 82191980
	s_add_u32 s96, s94, s96                                    // 0000000067D0: 8060605E
	s_addc_u32 s97, 0, s97                                     // 0000000067D4: 82616180
	s_addk_i32 s76, 0x100                                      // 0000000067D8: B74C0100
	s_cmp_lt_i32 s76, s77                                      // 0000000067DC: BF044D4C
	s_cbranch_scc0 label_0E7A                                  // 0000000067E0: BF840001
	s_branch label_0B85                                        // 0000000067E4: BF82FD0B

00000000000067e8 <label_0E7A>:
	s_mov_b32 s20, 0                                           // 0000000067E8: BE940080
	s_cmp_lt_u32 s85, s62                                      // 0000000067EC: BF0A3E55
	s_cselect_b32 s56, 0, 1                                    // 0000000067F0: 85388180
	s_lshl1_add_u32 s20, s20, s56                              // 0000000067F4: 97143814
	s_cmp_lt_u32 s84, s62                                      // 0000000067F8: BF0A3E54
	s_cselect_b32 s56, 0, 1                                    // 0000000067FC: 85388180
	s_lshl1_add_u32 s20, s20, s56                              // 000000006800: 97143814
	s_cmp_lt_u32 s83, s62                                      // 000000006804: BF0A3E53
	s_cselect_b32 s56, 0, 1                                    // 000000006808: 85388180
	s_lshl1_add_u32 s20, s20, s56                              // 00000000680C: 97143814
	s_cmp_lt_u32 s82, s62                                      // 000000006810: BF0A3E52
	s_cselect_b32 s56, 0, 1                                    // 000000006814: 85388180
	s_lshl1_add_u32 s20, s20, s56                              // 000000006818: 97143814
	s_cmp_lt_u32 s81, s62                                      // 00000000681C: BF0A3E51
	s_cselect_b32 s56, 0, 1                                    // 000000006820: 85388180
	s_lshl1_add_u32 s20, s20, s56                              // 000000006824: 97143814
	s_cmp_lt_u32 s80, s62                                      // 000000006828: BF0A3E50
	s_cselect_b32 s56, 0, 1                                    // 00000000682C: 85388180
	s_lshl1_add_u32 s20, s20, s56                              // 000000006830: 97143814
	s_cmp_lt_u32 s79, s62                                      // 000000006834: BF0A3E4F
	s_cselect_b32 s56, 0, 1                                    // 000000006838: 85388180
	s_lshl1_add_u32 s20, s20, s56                              // 00000000683C: 97143814
	s_cmp_lt_u32 s78, s62                                      // 000000006840: BF0A3E4E
	s_cselect_b32 s56, 0, 1                                    // 000000006844: 85388180
	s_lshl1_add_u32 s20, s20, s56                              // 000000006848: 97143814
	s_waitcnt vmcnt(12)                                        // 00000000684C: BF8C0F7C
	buffer_load_dwordx4 a[0:3], v43, s[12:15], 0 offen         // 000000006850: E05C1000 8083002B
	v_mul_f32_e64 v52, -v64, s6                                // 000000006858: D1050034 20000D40
	v_mul_f32_e64 v53, -v65, s6                                // 000000006860: D1050035 20000D41
	v_mul_f32_e64 v54, -v66, s6                                // 000000006868: D1050036 20000D42
	v_mul_f32_e64 v55, -v67, s6                                // 000000006870: D1050037 20000D43
	v_exp_f32_e32 v52, v52                                     // 000000006878: 7E684134
	v_exp_f32_e32 v53, v53                                     // 00000000687C: 7E6A4135
	v_exp_f32_e32 v54, v54                                     // 000000006880: 7E6C4136
	v_exp_f32_e32 v55, v55                                     // 000000006884: 7E6E4137
	buffer_load_dwordx4 a[4:7], v43, s[12:15], 0 offen offset:1024// 000000006888: E05C1400 8083042B
	v_add_f32_e64 v52, v52, 1.0                                // 000000006890: D1010034 0001E534
	v_add_f32_e64 v53, v53, 1.0                                // 000000006898: D1010035 0001E535
	v_add_f32_e64 v54, v54, 1.0                                // 0000000068A0: D1010036 0001E536
	v_add_f32_e64 v55, v55, 1.0                                // 0000000068A8: D1010037 0001E537
	v_rcp_f32_e32 v52, v52                                     // 0000000068B0: 7E684534
	v_rcp_f32_e32 v53, v53                                     // 0000000068B4: 7E6A4535
	v_rcp_f32_e32 v54, v54                                     // 0000000068B8: 7E6C4536
	v_rcp_f32_e32 v55, v55                                     // 0000000068BC: 7E6E4537
	v_mul_f32_e32 v64, v64, v52                                // 0000000068C0: 0A806940
	v_mul_f32_e32 v65, v65, v53                                // 0000000068C4: 0A826B41
	v_mul_f32_e32 v66, v66, v54                                // 0000000068C8: 0A846D42
	v_mul_f32_e32 v67, v67, v55                                // 0000000068CC: 0A866F43
	v_mul_f32_e32 v64, v64, v96                                // 0000000068D0: 0A80C140
	v_mul_f32_e32 v65, v65, v97                                // 0000000068D4: 0A82C341
	v_mul_f32_e32 v66, v66, v98                                // 0000000068D8: 0A84C542
	v_mul_f32_e32 v67, v67, v99                                // 0000000068DC: 0A86C743
	buffer_load_dwordx4 a[8:11], v44, s[12:15], 0 offen        // 0000000068E0: E05C1000 8083082C
	v_mul_f32_e64 v52, -v68, s6                                // 0000000068E8: D1050034 20000D44
	v_mul_f32_e64 v53, -v69, s6                                // 0000000068F0: D1050035 20000D45
	v_mul_f32_e64 v54, -v70, s6                                // 0000000068F8: D1050036 20000D46
	v_mul_f32_e64 v55, -v71, s6                                // 000000006900: D1050037 20000D47
	v_exp_f32_e32 v52, v52                                     // 000000006908: 7E684134
	v_exp_f32_e32 v53, v53                                     // 00000000690C: 7E6A4135
	v_exp_f32_e32 v54, v54                                     // 000000006910: 7E6C4136
	v_exp_f32_e32 v55, v55                                     // 000000006914: 7E6E4137
	buffer_load_dwordx4 a[12:15], v44, s[12:15], 0 offen offset:1024// 000000006918: E05C1400 80830C2C
	v_add_f32_e64 v52, v52, 1.0                                // 000000006920: D1010034 0001E534
	v_add_f32_e64 v53, v53, 1.0                                // 000000006928: D1010035 0001E535
	v_add_f32_e64 v54, v54, 1.0                                // 000000006930: D1010036 0001E536
	v_add_f32_e64 v55, v55, 1.0                                // 000000006938: D1010037 0001E537
	v_rcp_f32_e32 v52, v52                                     // 000000006940: 7E684534
	v_rcp_f32_e32 v53, v53                                     // 000000006944: 7E6A4535
	v_rcp_f32_e32 v54, v54                                     // 000000006948: 7E6C4536
	v_rcp_f32_e32 v55, v55                                     // 00000000694C: 7E6E4537
	v_mul_f32_e32 v68, v68, v52                                // 000000006950: 0A886944
	v_mul_f32_e32 v69, v69, v53                                // 000000006954: 0A8A6B45
	v_mul_f32_e32 v70, v70, v54                                // 000000006958: 0A8C6D46
	v_mul_f32_e32 v71, v71, v55                                // 00000000695C: 0A8E6F47
	v_mul_f32_e32 v68, v68, v100                               // 000000006960: 0A88C944
	v_mul_f32_e32 v69, v69, v101                               // 000000006964: 0A8ACB45
	v_mul_f32_e32 v70, v70, v102                               // 000000006968: 0A8CCD46
	v_mul_f32_e32 v71, v71, v103                               // 00000000696C: 0A8ECF47
	s_waitcnt vmcnt(12)                                        // 000000006970: BF8C0F7C
	buffer_load_dwordx4 a[16:19], v45, s[12:15], 0 offen       // 000000006974: E05C1000 8083102D
	v_mul_f32_e64 v52, -v72, s6                                // 00000000697C: D1050034 20000D48
	v_mul_f32_e64 v53, -v73, s6                                // 000000006984: D1050035 20000D49
	v_mul_f32_e64 v54, -v74, s6                                // 00000000698C: D1050036 20000D4A
	v_mul_f32_e64 v55, -v75, s6                                // 000000006994: D1050037 20000D4B
	v_exp_f32_e32 v52, v52                                     // 00000000699C: 7E684134
	v_exp_f32_e32 v53, v53                                     // 0000000069A0: 7E6A4135
	v_exp_f32_e32 v54, v54                                     // 0000000069A4: 7E6C4136
	v_exp_f32_e32 v55, v55                                     // 0000000069A8: 7E6E4137
	buffer_load_dwordx4 a[20:23], v45, s[12:15], 0 offen offset:1024// 0000000069AC: E05C1400 8083142D
	v_add_f32_e64 v52, v52, 1.0                                // 0000000069B4: D1010034 0001E534
	v_add_f32_e64 v53, v53, 1.0                                // 0000000069BC: D1010035 0001E535
	v_add_f32_e64 v54, v54, 1.0                                // 0000000069C4: D1010036 0001E536
	v_add_f32_e64 v55, v55, 1.0                                // 0000000069CC: D1010037 0001E537
	v_rcp_f32_e32 v52, v52                                     // 0000000069D4: 7E684534
	v_rcp_f32_e32 v53, v53                                     // 0000000069D8: 7E6A4535
	v_rcp_f32_e32 v54, v54                                     // 0000000069DC: 7E6C4536
	v_rcp_f32_e32 v55, v55                                     // 0000000069E0: 7E6E4537
	v_mul_f32_e32 v72, v72, v52                                // 0000000069E4: 0A906948
	v_mul_f32_e32 v73, v73, v53                                // 0000000069E8: 0A926B49
	v_mul_f32_e32 v74, v74, v54                                // 0000000069EC: 0A946D4A
	v_mul_f32_e32 v75, v75, v55                                // 0000000069F0: 0A966F4B
	v_mul_f32_e32 v72, v72, v104                               // 0000000069F4: 0A90D148
	v_mul_f32_e32 v73, v73, v105                               // 0000000069F8: 0A92D349
	v_mul_f32_e32 v74, v74, v106                               // 0000000069FC: 0A94D54A
	v_mul_f32_e32 v75, v75, v107                               // 000000006A00: 0A96D74B
	buffer_load_dwordx4 a[24:27], v46, s[12:15], 0 offen       // 000000006A04: E05C1000 8083182E
	v_mul_f32_e64 v52, -v76, s6                                // 000000006A0C: D1050034 20000D4C
	v_mul_f32_e64 v53, -v77, s6                                // 000000006A14: D1050035 20000D4D
	v_mul_f32_e64 v54, -v78, s6                                // 000000006A1C: D1050036 20000D4E
	v_mul_f32_e64 v55, -v79, s6                                // 000000006A24: D1050037 20000D4F
	v_exp_f32_e32 v52, v52                                     // 000000006A2C: 7E684134
	v_exp_f32_e32 v53, v53                                     // 000000006A30: 7E6A4135
	v_exp_f32_e32 v54, v54                                     // 000000006A34: 7E6C4136
	v_exp_f32_e32 v55, v55                                     // 000000006A38: 7E6E4137
	buffer_load_dwordx4 a[28:31], v46, s[12:15], 0 offen offset:1024// 000000006A3C: E05C1400 80831C2E
	s_add_u32 s12, s74, s12                                    // 000000006A44: 800C0C4A
	s_addc_u32 s13, 0, s13                                     // 000000006A48: 820D0D80
	v_add_f32_e64 v52, v52, 1.0                                // 000000006A4C: D1010034 0001E534
	v_add_f32_e64 v53, v53, 1.0                                // 000000006A54: D1010035 0001E535
	v_add_f32_e64 v54, v54, 1.0                                // 000000006A5C: D1010036 0001E536
	v_add_f32_e64 v55, v55, 1.0                                // 000000006A64: D1010037 0001E537
	v_rcp_f32_e32 v52, v52                                     // 000000006A6C: 7E684534
	v_rcp_f32_e32 v53, v53                                     // 000000006A70: 7E6A4535
	v_rcp_f32_e32 v54, v54                                     // 000000006A74: 7E6C4536
	v_rcp_f32_e32 v55, v55                                     // 000000006A78: 7E6E4537
	v_mul_f32_e32 v76, v76, v52                                // 000000006A7C: 0A98694C
	v_mul_f32_e32 v77, v77, v53                                // 000000006A80: 0A9A6B4D
	v_mul_f32_e32 v78, v78, v54                                // 000000006A84: 0A9C6D4E
	v_mul_f32_e32 v79, v79, v55                                // 000000006A88: 0A9E6F4F
	v_mul_f32_e32 v76, v76, v108                               // 000000006A8C: 0A98D94C
	v_mul_f32_e32 v77, v77, v109                               // 000000006A90: 0A9ADB4D
	v_mul_f32_e32 v78, v78, v110                               // 000000006A94: 0A9CDD4E
	v_mul_f32_e32 v79, v79, v111                               // 000000006A98: 0A9EDF4F
	s_waitcnt vmcnt(12)                                        // 000000006A9C: BF8C0F7C
	buffer_load_dwordx4 a[32:35], v43, s[12:15], 0 offen       // 000000006AA0: E05C1000 8083202B
	v_mul_f32_e64 v52, -v80, s6                                // 000000006AA8: D1050034 20000D50
	v_mul_f32_e64 v53, -v81, s6                                // 000000006AB0: D1050035 20000D51
	v_mul_f32_e64 v54, -v82, s6                                // 000000006AB8: D1050036 20000D52
	v_mul_f32_e64 v55, -v83, s6                                // 000000006AC0: D1050037 20000D53
	v_exp_f32_e32 v52, v52                                     // 000000006AC8: 7E684134
	v_exp_f32_e32 v53, v53                                     // 000000006ACC: 7E6A4135
	v_exp_f32_e32 v54, v54                                     // 000000006AD0: 7E6C4136
	v_exp_f32_e32 v55, v55                                     // 000000006AD4: 7E6E4137
	buffer_load_dwordx4 a[36:39], v43, s[12:15], 0 offen offset:1024// 000000006AD8: E05C1400 8083242B
	v_add_f32_e64 v52, v52, 1.0                                // 000000006AE0: D1010034 0001E534
	v_add_f32_e64 v53, v53, 1.0                                // 000000006AE8: D1010035 0001E535
	v_add_f32_e64 v54, v54, 1.0                                // 000000006AF0: D1010036 0001E536
	v_add_f32_e64 v55, v55, 1.0                                // 000000006AF8: D1010037 0001E537
	v_rcp_f32_e32 v52, v52                                     // 000000006B00: 7E684534
	v_rcp_f32_e32 v53, v53                                     // 000000006B04: 7E6A4535
	v_rcp_f32_e32 v54, v54                                     // 000000006B08: 7E6C4536
	v_rcp_f32_e32 v55, v55                                     // 000000006B0C: 7E6E4537
	v_mul_f32_e32 v80, v80, v52                                // 000000006B10: 0AA06950
	v_mul_f32_e32 v81, v81, v53                                // 000000006B14: 0AA26B51
	v_mul_f32_e32 v82, v82, v54                                // 000000006B18: 0AA46D52
	v_mul_f32_e32 v83, v83, v55                                // 000000006B1C: 0AA66F53
	v_mul_f32_e32 v80, v80, v112                               // 000000006B20: 0AA0E150
	v_mul_f32_e32 v81, v81, v113                               // 000000006B24: 0AA2E351
	v_mul_f32_e32 v82, v82, v114                               // 000000006B28: 0AA4E552
	v_mul_f32_e32 v83, v83, v115                               // 000000006B2C: 0AA6E753
	buffer_load_dwordx4 a[40:43], v44, s[12:15], 0 offen       // 000000006B30: E05C1000 8083282C
	v_mul_f32_e64 v52, -v84, s6                                // 000000006B38: D1050034 20000D54
	v_mul_f32_e64 v53, -v85, s6                                // 000000006B40: D1050035 20000D55
	v_mul_f32_e64 v54, -v86, s6                                // 000000006B48: D1050036 20000D56
	v_mul_f32_e64 v55, -v87, s6                                // 000000006B50: D1050037 20000D57
	v_exp_f32_e32 v52, v52                                     // 000000006B58: 7E684134
	v_exp_f32_e32 v53, v53                                     // 000000006B5C: 7E6A4135
	v_exp_f32_e32 v54, v54                                     // 000000006B60: 7E6C4136
	v_exp_f32_e32 v55, v55                                     // 000000006B64: 7E6E4137
	buffer_load_dwordx4 a[44:47], v44, s[12:15], 0 offen offset:1024// 000000006B68: E05C1400 80832C2C
	v_add_f32_e64 v52, v52, 1.0                                // 000000006B70: D1010034 0001E534
	v_add_f32_e64 v53, v53, 1.0                                // 000000006B78: D1010035 0001E535
	v_add_f32_e64 v54, v54, 1.0                                // 000000006B80: D1010036 0001E536
	v_add_f32_e64 v55, v55, 1.0                                // 000000006B88: D1010037 0001E537
	v_rcp_f32_e32 v52, v52                                     // 000000006B90: 7E684534
	v_rcp_f32_e32 v53, v53                                     // 000000006B94: 7E6A4535
	v_rcp_f32_e32 v54, v54                                     // 000000006B98: 7E6C4536
	v_rcp_f32_e32 v55, v55                                     // 000000006B9C: 7E6E4537
	v_mul_f32_e32 v84, v84, v52                                // 000000006BA0: 0AA86954
	v_mul_f32_e32 v85, v85, v53                                // 000000006BA4: 0AAA6B55
	v_mul_f32_e32 v86, v86, v54                                // 000000006BA8: 0AAC6D56
	v_mul_f32_e32 v87, v87, v55                                // 000000006BAC: 0AAE6F57
	v_mul_f32_e32 v84, v84, v116                               // 000000006BB0: 0AA8E954
	v_mul_f32_e32 v85, v85, v117                               // 000000006BB4: 0AAAEB55
	v_mul_f32_e32 v86, v86, v118                               // 000000006BB8: 0AACED56
	v_mul_f32_e32 v87, v87, v119                               // 000000006BBC: 0AAEEF57
	s_waitcnt vmcnt(12)                                        // 000000006BC0: BF8C0F7C
	buffer_load_dwordx4 a[48:51], v45, s[12:15], 0 offen       // 000000006BC4: E05C1000 8083302D
	v_mul_f32_e64 v52, -v88, s6                                // 000000006BCC: D1050034 20000D58
	v_mul_f32_e64 v53, -v89, s6                                // 000000006BD4: D1050035 20000D59
	v_mul_f32_e64 v54, -v90, s6                                // 000000006BDC: D1050036 20000D5A
	v_mul_f32_e64 v55, -v91, s6                                // 000000006BE4: D1050037 20000D5B
	v_exp_f32_e32 v52, v52                                     // 000000006BEC: 7E684134
	v_exp_f32_e32 v53, v53                                     // 000000006BF0: 7E6A4135
	v_exp_f32_e32 v54, v54                                     // 000000006BF4: 7E6C4136
	v_exp_f32_e32 v55, v55                                     // 000000006BF8: 7E6E4137
	buffer_load_dwordx4 a[52:55], v45, s[12:15], 0 offen offset:1024// 000000006BFC: E05C1400 8083342D
	v_add_f32_e64 v52, v52, 1.0                                // 000000006C04: D1010034 0001E534
	v_add_f32_e64 v53, v53, 1.0                                // 000000006C0C: D1010035 0001E535
	v_add_f32_e64 v54, v54, 1.0                                // 000000006C14: D1010036 0001E536
	v_add_f32_e64 v55, v55, 1.0                                // 000000006C1C: D1010037 0001E537
	v_rcp_f32_e32 v52, v52                                     // 000000006C24: 7E684534
	v_rcp_f32_e32 v53, v53                                     // 000000006C28: 7E6A4535
	v_rcp_f32_e32 v54, v54                                     // 000000006C2C: 7E6C4536
	v_rcp_f32_e32 v55, v55                                     // 000000006C30: 7E6E4537
	v_mul_f32_e32 v88, v88, v52                                // 000000006C34: 0AB06958
	v_mul_f32_e32 v89, v89, v53                                // 000000006C38: 0AB26B59
	v_mul_f32_e32 v90, v90, v54                                // 000000006C3C: 0AB46D5A
	v_mul_f32_e32 v91, v91, v55                                // 000000006C40: 0AB66F5B
	v_mul_f32_e32 v88, v88, v120                               // 000000006C44: 0AB0F158
	v_mul_f32_e32 v89, v89, v121                               // 000000006C48: 0AB2F359
	v_mul_f32_e32 v90, v90, v122                               // 000000006C4C: 0AB4F55A
	v_mul_f32_e32 v91, v91, v123                               // 000000006C50: 0AB6F75B
	buffer_load_dwordx4 a[56:59], v46, s[12:15], 0 offen       // 000000006C54: E05C1000 8083382E
	v_mul_f32_e64 v52, -v92, s6                                // 000000006C5C: D1050034 20000D5C
	v_mul_f32_e64 v53, -v93, s6                                // 000000006C64: D1050035 20000D5D
	v_mul_f32_e64 v54, -v94, s6                                // 000000006C6C: D1050036 20000D5E
	v_mul_f32_e64 v55, -v95, s6                                // 000000006C74: D1050037 20000D5F
	v_exp_f32_e32 v52, v52                                     // 000000006C7C: 7E684134
	v_exp_f32_e32 v53, v53                                     // 000000006C80: 7E6A4135
	v_exp_f32_e32 v54, v54                                     // 000000006C84: 7E6C4136
	v_exp_f32_e32 v55, v55                                     // 000000006C88: 7E6E4137
	buffer_load_dwordx4 a[60:63], v46, s[12:15], 0 offen offset:1024// 000000006C8C: E05C1400 80833C2E
	v_add_f32_e64 v52, v52, 1.0                                // 000000006C94: D1010034 0001E534
	v_add_f32_e64 v53, v53, 1.0                                // 000000006C9C: D1010035 0001E535
	v_add_f32_e64 v54, v54, 1.0                                // 000000006CA4: D1010036 0001E536
	v_add_f32_e64 v55, v55, 1.0                                // 000000006CAC: D1010037 0001E537
	v_rcp_f32_e32 v52, v52                                     // 000000006CB4: 7E684534
	v_rcp_f32_e32 v53, v53                                     // 000000006CB8: 7E6A4535
	v_rcp_f32_e32 v54, v54                                     // 000000006CBC: 7E6C4536
	v_rcp_f32_e32 v55, v55                                     // 000000006CC0: 7E6E4537
	v_mul_f32_e32 v92, v92, v52                                // 000000006CC4: 0AB8695C
	v_mul_f32_e32 v93, v93, v53                                // 000000006CC8: 0ABA6B5D
	v_mul_f32_e32 v94, v94, v54                                // 000000006CCC: 0ABC6D5E
	v_mul_f32_e32 v95, v95, v55                                // 000000006CD0: 0ABE6F5F
	v_mul_f32_e32 v92, v92, v124                               // 000000006CD4: 0AB8F95C
	v_mul_f32_e32 v93, v93, v125                               // 000000006CD8: 0ABAFB5D
	v_mul_f32_e32 v94, v94, v126                               // 000000006CDC: 0ABCFD5E
	v_mul_f32_e32 v95, v95, v127                               // 000000006CE0: 0ABEFF5F
	buffer_load_dword v29, v8, s[16:19], 0 offen               // 000000006CE4: E0501000 80041D08
	v_mov_b32_e32 v128, 0x358637bd                             // 000000006CEC: 7F0002FF 358637BD
	v_mov_b32_e32 v129, 0x358637bd                             // 000000006CF4: 7F0202FF 358637BD
	v_max3_f32 v128, |v64|, |v65|, v128                        // 000000006CFC: D1D30380 06028340
	v_max3_f32 v128, |v66|, |v67|, v128                        // 000000006D04: D1D30380 06028742
	v_max3_f32 v129, |v68|, |v69|, v129                        // 000000006D0C: D1D30381 06068B44
	v_max3_f32 v129, |v70|, |v71|, v129                        // 000000006D14: D1D30381 06068F46
	v_max3_f32 v128, |v72|, |v73|, v128                        // 000000006D1C: D1D30380 06029348
	v_max3_f32 v128, |v74|, |v75|, v128                        // 000000006D24: D1D30380 0602974A
	v_max3_f32 v129, |v76|, |v77|, v129                        // 000000006D2C: D1D30381 06069B4C
	v_max3_f32 v129, |v78|, |v79|, v129                        // 000000006D34: D1D30381 06069F4E
	v_mov_b32_e32 v52, v128                                    // 000000006D3C: 7E680380
	s_nop 1                                                    // 000000006D40: BF800001
	v_permlane32_swap_b32_e32 v52, v128                        // 000000006D44: 7E68B580
	v_max_f32_e32 v128, v52, v128                              // 000000006D48: 17010134
	v_mov_b32_e32 v52, v128                                    // 000000006D4C: 7E680380
	s_nop 1                                                    // 000000006D50: BF800001
	v_permlane16_swap_b32_e32 v52, v128                        // 000000006D54: 7E68B380
	v_max_f32_e32 v128, v52, v128                              // 000000006D58: 17010134
	v_mov_b32_e32 v52, v129                                    // 000000006D5C: 7E680381
	s_nop 1                                                    // 000000006D60: BF800001
	v_permlane32_swap_b32_e32 v52, v129                        // 000000006D64: 7E68B581
	v_max_f32_e32 v129, v52, v129                              // 000000006D68: 17030334
	v_mov_b32_e32 v52, v129                                    // 000000006D6C: 7E680381
	s_nop 1                                                    // 000000006D70: BF800001
	v_permlane16_swap_b32_e32 v52, v129                        // 000000006D74: 7E68B381
	v_max_f32_e32 v129, v52, v129                              // 000000006D78: 17030334
	v_lshlrev_b32_e32 v52, 2, v0                               // 000000006D7C: 24680082
	s_mul_i32 s56, 64, s7                                      // 000000006D80: 923807C0
	v_add_u32_e32 v52, s56, v52                                // 000000006D84: 68686838
	s_mov_b32 s56, 0xffff                                      // 000000006D88: BEB800FF 0000FFFF
	s_mov_b32 s57, 0                                           // 000000006D90: BEB90080
	s_mov_b64 exec, s[56:57]                                   // 000000006D94: BEFE0138
	ds_write_b32 v52, v128 offset:18944                        // 000000006D98: D81A4A00 00008034
	ds_write_b32 v52, v129 offset:19200                        // 000000006DA0: D81A4B00 00008134
	s_mov_b32 s56, -1                                          // 000000006DA8: BEB800C1
	s_mov_b32 s57, -1                                          // 000000006DAC: BEB900C1
	s_mov_b64 exec, s[56:57]                                   // 000000006DB0: BEFE0138
	s_waitcnt lgkmcnt(0)                                       // 000000006DB4: BF8CC07F
	s_barrier                                                  // 000000006DB8: BF8A0000
	v_lshlrev_b32_e32 v52, 2, v0                               // 000000006DBC: 24680082
	ds_read_b32 v254, v52 offset:18944                         // 000000006DC0: D86C4A00 FE000034
	ds_read_b32 v255, v52 offset:19200                         // 000000006DC8: D86C4B00 FF000034
	s_waitcnt lgkmcnt(0)                                       // 000000006DD0: BF8CC07F
	v_mov_b32_e32 v52, v254                                    // 000000006DD4: 7E6803FE
	s_nop 1                                                    // 000000006DD8: BF800001
	v_permlane32_swap_b32_e32 v52, v254                        // 000000006DDC: 7E68B5FE
	v_max_f32_e32 v254, v52, v254                              // 000000006DE0: 17FDFD34
	v_mov_b32_e32 v52, v254                                    // 000000006DE4: 7E6803FE
	s_nop 1                                                    // 000000006DE8: BF800001
	v_permlane16_swap_b32_e32 v52, v254                        // 000000006DEC: 7E68B3FE
	v_max_f32_e32 v254, v52, v254                              // 000000006DF0: 17FDFD34
	v_mov_b32_e32 v52, v255                                    // 000000006DF4: 7E6803FF
	s_nop 1                                                    // 000000006DF8: BF800001
	v_permlane32_swap_b32_e32 v52, v255                        // 000000006DFC: 7E68B5FF
	v_max_f32_e32 v255, v52, v255                              // 000000006E00: 17FFFF34
	v_mov_b32_e32 v52, v255                                    // 000000006E04: 7E6803FF
	s_nop 1                                                    // 000000006E08: BF800001
	v_permlane16_swap_b32_e32 v52, v255                        // 000000006E0C: 7E68B3FF
	v_max_f32_e32 v255, v52, v255                              // 000000006E10: 17FFFF34
	v_max_f32_e32 v128, v254, v128                             // 000000006E14: 170101FE
	v_max_f32_e32 v129, v255, v129                             // 000000006E18: 170303FF
	v_rcp_f32_e32 v128, v128                                   // 000000006E1C: 7F004580
	v_rcp_f32_e32 v129, v129                                   // 000000006E20: 7F024581
	v_mov_b32_e32 v52, 0x43e00000                              // 000000006E24: 7E6802FF 43E00000
	v_mul_f32_e32 v128, v52, v128                              // 000000006E2C: 0B010134
	v_mul_f32_e32 v129, v52, v129                              // 000000006E30: 0B030334
	v_mul_f32_e32 v64, v128, v64                               // 000000006E34: 0A808180
	v_mul_f32_e32 v65, v128, v65                               // 000000006E38: 0A828380
	v_mul_f32_e32 v66, v128, v66                               // 000000006E3C: 0A848580
	v_mul_f32_e32 v67, v128, v67                               // 000000006E40: 0A868780
	v_cvt_pk_fp8_f32 v64, v64, v65                             // 000000006E44: D2A20040 00028340
	v_cvt_pk_fp8_f32 v64, v66, v67 op_sel:[0,0,1]              // 000000006E4C: D2A24040 00028742
	v_mul_f32_e32 v68, v129, v68                               // 000000006E54: 0A888981
	v_mul_f32_e32 v69, v129, v69                               // 000000006E58: 0A8A8B81
	v_mul_f32_e32 v70, v129, v70                               // 000000006E5C: 0A8C8D81
	v_mul_f32_e32 v71, v129, v71                               // 000000006E60: 0A8E8F81
	v_cvt_pk_fp8_f32 v65, v68, v69                             // 000000006E64: D2A20041 00028B44
	v_cvt_pk_fp8_f32 v65, v70, v71 op_sel:[0,0,1]              // 000000006E6C: D2A24041 00028F46
	v_mul_f32_e32 v72, v128, v72                               // 000000006E74: 0A909180
	v_mul_f32_e32 v73, v128, v73                               // 000000006E78: 0A929380
	v_mul_f32_e32 v74, v128, v74                               // 000000006E7C: 0A949580
	v_mul_f32_e32 v75, v128, v75                               // 000000006E80: 0A969780
	v_cvt_pk_fp8_f32 v66, v72, v73                             // 000000006E84: D2A20042 00029348
	v_cvt_pk_fp8_f32 v66, v74, v75 op_sel:[0,0,1]              // 000000006E8C: D2A24042 0002974A
	v_mul_f32_e32 v76, v129, v76                               // 000000006E94: 0A989981
	v_mul_f32_e32 v77, v129, v77                               // 000000006E98: 0A9A9B81
	v_mul_f32_e32 v78, v129, v78                               // 000000006E9C: 0A9C9D81
	v_mul_f32_e32 v79, v129, v79                               // 000000006EA0: 0A9E9F81
	v_cvt_pk_fp8_f32 v67, v76, v77                             // 000000006EA4: D2A20043 00029B4C
	v_cvt_pk_fp8_f32 v67, v78, v79 op_sel:[0,0,1]              // 000000006EAC: D2A24043 00029F4E
	v_rcp_f32_e32 v21, v128                                    // 000000006EB4: 7E2A4580
	v_rcp_f32_e32 v22, v129                                    // 000000006EB8: 7E2C4581
	v_mov_b32_e32 v130, 0x358637bd                             // 000000006EBC: 7F0402FF 358637BD
	v_mov_b32_e32 v131, 0x358637bd                             // 000000006EC4: 7F0602FF 358637BD
	v_max3_f32 v130, |v80|, |v81|, v130                        // 000000006ECC: D1D30382 060AA350
	v_max3_f32 v130, |v82|, |v83|, v130                        // 000000006ED4: D1D30382 060AA752
	v_max3_f32 v131, |v84|, |v85|, v131                        // 000000006EDC: D1D30383 060EAB54
	v_max3_f32 v131, |v86|, |v87|, v131                        // 000000006EE4: D1D30383 060EAF56
	v_max3_f32 v130, |v88|, |v89|, v130                        // 000000006EEC: D1D30382 060AB358
	v_max3_f32 v130, |v90|, |v91|, v130                        // 000000006EF4: D1D30382 060AB75A
	v_max3_f32 v131, |v92|, |v93|, v131                        // 000000006EFC: D1D30383 060EBB5C
	v_max3_f32 v131, |v94|, |v95|, v131                        // 000000006F04: D1D30383 060EBF5E
	v_mov_b32_e32 v52, v130                                    // 000000006F0C: 7E680382
	s_nop 1                                                    // 000000006F10: BF800001
	v_permlane32_swap_b32_e32 v52, v130                        // 000000006F14: 7E68B582
	v_max_f32_e32 v130, v52, v130                              // 000000006F18: 17050534
	v_mov_b32_e32 v52, v130                                    // 000000006F1C: 7E680382
	s_nop 1                                                    // 000000006F20: BF800001
	v_permlane16_swap_b32_e32 v52, v130                        // 000000006F24: 7E68B382
	v_max_f32_e32 v130, v52, v130                              // 000000006F28: 17050534
	v_mov_b32_e32 v52, v131                                    // 000000006F2C: 7E680383
	s_nop 1                                                    // 000000006F30: BF800001
	v_permlane32_swap_b32_e32 v52, v131                        // 000000006F34: 7E68B583
	v_max_f32_e32 v131, v52, v131                              // 000000006F38: 17070734
	v_mov_b32_e32 v52, v131                                    // 000000006F3C: 7E680383
	s_nop 1                                                    // 000000006F40: BF800001
	v_permlane16_swap_b32_e32 v52, v131                        // 000000006F44: 7E68B383
	v_max_f32_e32 v131, v52, v131                              // 000000006F48: 17070734
	v_lshlrev_b32_e32 v52, 2, v0                               // 000000006F4C: 24680082
	s_mul_i32 s56, 64, s7                                      // 000000006F50: 923807C0
	v_add_u32_e32 v52, s56, v52                                // 000000006F54: 68686838
	s_mov_b32 s56, 0xffff                                      // 000000006F58: BEB800FF 0000FFFF
	s_mov_b32 s57, 0                                           // 000000006F60: BEB90080
	s_mov_b64 exec, s[56:57]                                   // 000000006F64: BEFE0138
	ds_write_b32 v52, v130 offset:18944                        // 000000006F68: D81A4A00 00008234
	ds_write_b32 v52, v131 offset:19200                        // 000000006F70: D81A4B00 00008334
	s_mov_b32 s56, -1                                          // 000000006F78: BEB800C1
	s_mov_b32 s57, -1                                          // 000000006F7C: BEB900C1
	s_mov_b64 exec, s[56:57]                                   // 000000006F80: BEFE0138
	s_waitcnt lgkmcnt(0)                                       // 000000006F84: BF8CC07F
	s_barrier                                                  // 000000006F88: BF8A0000
	v_lshlrev_b32_e32 v52, 2, v0                               // 000000006F8C: 24680082
	ds_read_b32 v254, v52 offset:18944                         // 000000006F90: D86C4A00 FE000034
	ds_read_b32 v255, v52 offset:19200                         // 000000006F98: D86C4B00 FF000034
	s_waitcnt lgkmcnt(0)                                       // 000000006FA0: BF8CC07F
	v_mov_b32_e32 v52, v254                                    // 000000006FA4: 7E6803FE
	s_nop 1                                                    // 000000006FA8: BF800001
	v_permlane32_swap_b32_e32 v52, v254                        // 000000006FAC: 7E68B5FE
	v_max_f32_e32 v254, v52, v254                              // 000000006FB0: 17FDFD34
	v_mov_b32_e32 v52, v254                                    // 000000006FB4: 7E6803FE
	s_nop 1                                                    // 000000006FB8: BF800001
	v_permlane16_swap_b32_e32 v52, v254                        // 000000006FBC: 7E68B3FE
	v_max_f32_e32 v254, v52, v254                              // 000000006FC0: 17FDFD34
	v_mov_b32_e32 v52, v255                                    // 000000006FC4: 7E6803FF
	s_nop 1                                                    // 000000006FC8: BF800001
	v_permlane32_swap_b32_e32 v52, v255                        // 000000006FCC: 7E68B5FF
	v_max_f32_e32 v255, v52, v255                              // 000000006FD0: 17FFFF34
	v_mov_b32_e32 v52, v255                                    // 000000006FD4: 7E6803FF
	s_nop 1                                                    // 000000006FD8: BF800001
	v_permlane16_swap_b32_e32 v52, v255                        // 000000006FDC: 7E68B3FF
	v_max_f32_e32 v255, v52, v255                              // 000000006FE0: 17FFFF34
	v_max_f32_e32 v130, v254, v130                             // 000000006FE4: 170505FE
	v_max_f32_e32 v131, v255, v131                             // 000000006FE8: 170707FF
	v_rcp_f32_e32 v130, v130                                   // 000000006FEC: 7F044582
	v_rcp_f32_e32 v131, v131                                   // 000000006FF0: 7F064583
	v_mov_b32_e32 v52, 0x43e00000                              // 000000006FF4: 7E6802FF 43E00000
	v_mul_f32_e32 v130, v52, v130                              // 000000006FFC: 0B050534
	v_mul_f32_e32 v131, v52, v131                              // 000000007000: 0B070734
	v_mul_f32_e32 v80, v130, v80                               // 000000007004: 0AA0A182
	v_mul_f32_e32 v81, v130, v81                               // 000000007008: 0AA2A382
	v_mul_f32_e32 v82, v130, v82                               // 00000000700C: 0AA4A582
	v_mul_f32_e32 v83, v130, v83                               // 000000007010: 0AA6A782
	v_cvt_pk_fp8_f32 v68, v80, v81                             // 000000007014: D2A20044 0002A350
	v_cvt_pk_fp8_f32 v68, v82, v83 op_sel:[0,0,1]              // 00000000701C: D2A24044 0002A752
	v_mul_f32_e32 v84, v131, v84                               // 000000007024: 0AA8A983
	v_mul_f32_e32 v85, v131, v85                               // 000000007028: 0AAAAB83
	v_mul_f32_e32 v86, v131, v86                               // 00000000702C: 0AACAD83
	v_mul_f32_e32 v87, v131, v87                               // 000000007030: 0AAEAF83
	v_cvt_pk_fp8_f32 v69, v84, v85                             // 000000007034: D2A20045 0002AB54
	v_cvt_pk_fp8_f32 v69, v86, v87 op_sel:[0,0,1]              // 00000000703C: D2A24045 0002AF56
	v_mul_f32_e32 v88, v130, v88                               // 000000007044: 0AB0B182
	v_mul_f32_e32 v89, v130, v89                               // 000000007048: 0AB2B382
	v_mul_f32_e32 v90, v130, v90                               // 00000000704C: 0AB4B582
	v_mul_f32_e32 v91, v130, v91                               // 000000007050: 0AB6B782
	v_cvt_pk_fp8_f32 v70, v88, v89                             // 000000007054: D2A20046 0002B358
	v_cvt_pk_fp8_f32 v70, v90, v91 op_sel:[0,0,1]              // 00000000705C: D2A24046 0002B75A
	v_mul_f32_e32 v92, v131, v92                               // 000000007064: 0AB8B983
	v_mul_f32_e32 v93, v131, v93                               // 000000007068: 0ABABB83
	v_mul_f32_e32 v94, v131, v94                               // 00000000706C: 0ABCBD83
	v_mul_f32_e32 v95, v131, v95                               // 000000007070: 0ABEBF83
	v_cvt_pk_fp8_f32 v71, v92, v93                             // 000000007074: D2A20047 0002BB5C
	v_cvt_pk_fp8_f32 v71, v94, v95 op_sel:[0,0,1]              // 00000000707C: D2A24047 0002BF5E
	v_rcp_f32_e32 v23, v130                                    // 000000007084: 7E2E4582
	v_rcp_f32_e32 v24, v131                                    // 000000007088: 7E304583
	v_lshrrev_b32_e32 v52, 5, v0                               // 00000000708C: 20680085
	v_lshlrev_b32_e32 v53, 6, v52                              // 000000007090: 246A6886
	v_and_b32_e32 v52, 31, v0                                  // 000000007094: 2668009F
	v_lshrrev_b32_e32 v54, 4, v52                              // 000000007098: 206C6884
	v_add_u32_e32 v53, v54, v53                                // 00000000709C: 686A6B36
	v_and_b32_e32 v52, 15, v0                                  // 0000000070A0: 2668008F
	v_lshlrev_b32_e32 v52, 1, v52                              // 0000000070A4: 24686881
	v_add_u32_e32 v53, v52, v53                                // 0000000070A8: 686A6B34
	v_lshlrev_b32_e32 v52, 2, v53                              // 0000000070AC: 24686A82
	s_mov_b32 s56, 0                                           // 0000000070B0: BEB80080
	s_lshr_b32 s57, s7, 1                                      // 0000000070B4: 8F398107
	s_mul_i32 s57, s57, 0x200                                  // 0000000070B8: 9239FF39 00000200
	s_add_u32 s56, s57, s56                                    // 0000000070C0: 80383839
	s_and_b32 s57, s7, 1                                       // 0000000070C4: 86398107
	s_mul_i32 s57, s57, 0x80                                   // 0000000070C8: 9239FF39 00000080
	s_add_u32 s56, s57, s56                                    // 0000000070D0: 80383839
	v_add_u32_e64 v52, v52, s56                                // 0000000070D4: D1340034 00007134
	ds_write_b32 v52, v64 offset:20992                         // 0000000070DC: D81A5200 00004034
	ds_write_b32 v52, v65 offset:25088                         // 0000000070E4: D81A6200 00004134
	ds_write_b32 v52, v66 offset:22016                         // 0000000070EC: D81A5600 00004234
	ds_write_b32 v52, v67 offset:26112                         // 0000000070F4: D81A6600 00004334
	ds_write_b32 v52, v68 offset:23040                         // 0000000070FC: D81A5A00 00004434
	ds_write_b32 v52, v69 offset:27136                         // 000000007104: D81A6A00 00004534
	ds_write_b32 v52, v70 offset:24064                         // 00000000710C: D81A5E00 00004634
	ds_write_b32 v52, v71 offset:28160                         // 000000007114: D81A6E00 00004734
	s_waitcnt lgkmcnt(0)                                       // 00000000711C: BF8CC07F
	s_barrier                                                  // 000000007120: BF8A0000
	v_and_b32_e32 v52, 31, v0                                  // 000000007124: 2668009F
	v_lshrrev_b32_e32 v52, 4, v52                              // 000000007128: 20686884
	v_lshlrev_b32_e32 v53, 5, v52                              // 00000000712C: 246A6885
	v_lshrrev_b32_e32 v52, 5, v0                               // 000000007130: 20680085
	v_lshlrev_b32_e32 v52, 7, v52                              // 000000007134: 24686887
	v_add_u32_e32 v53, v52, v53                                // 000000007138: 686A6B34
	v_and_b32_e32 v52, 15, v0                                  // 00000000713C: 2668008F
	v_lshlrev_b32_e32 v52, 1, v52                              // 000000007140: 24686881
	v_add_u32_e32 v53, v52, v53                                // 000000007144: 686A6B34
	v_lshlrev_b32_e32 v52, 2, v53                              // 000000007148: 24686A82
	ds_read_b64 a[128:129], v52 offset:20992                   // 00000000714C: DAEC5200 80000034
	ds_read_b64 a[130:131], v52 offset:21248                   // 000000007154: DAEC5300 82000034
	ds_read_b64 a[132:133], v52 offset:22016                   // 00000000715C: DAEC5600 84000034
	ds_read_b64 a[134:135], v52 offset:22272                   // 000000007164: DAEC5700 86000034
	ds_read_b64 a[136:137], v52 offset:23040                   // 00000000716C: DAEC5A00 88000034
	ds_read_b64 a[138:139], v52 offset:23296                   // 000000007174: DAEC5B00 8A000034
	ds_read_b64 a[140:141], v52 offset:24064                   // 00000000717C: DAEC5E00 8C000034
	ds_read_b64 a[142:143], v52 offset:24320                   // 000000007184: DAEC5F00 8E000034
	ds_read_b64 a[144:145], v52 offset:25088                   // 00000000718C: DAEC6200 90000034
	ds_read_b64 a[146:147], v52 offset:25344                   // 000000007194: DAEC6300 92000034
	ds_read_b64 a[148:149], v52 offset:26112                   // 00000000719C: DAEC6600 94000034
	ds_read_b64 a[150:151], v52 offset:26368                   // 0000000071A4: DAEC6700 96000034
	ds_read_b64 a[152:153], v52 offset:27136                   // 0000000071AC: DAEC6A00 98000034
	ds_read_b64 a[154:155], v52 offset:27392                   // 0000000071B4: DAEC6B00 9A000034
	ds_read_b64 a[156:157], v52 offset:28160                   // 0000000071BC: DAEC6E00 9C000034
	ds_read_b64 a[158:159], v52 offset:28416                   // 0000000071C4: DAEC6F00 9E000034
	v_lshlrev_b32_e32 v52, 2, v0                               // 0000000071CC: 24680082
	s_mul_i32 s56, s78, s67                                    // 0000000071D0: 9238434E
	v_add_u32_e64 v80, v52, s56                                // 0000000071D4: D1340050 00007134
	v_mov_b32_e32 v81, 0                                       // 0000000071DC: 7EA20280
	s_mul_i32 s56, s79, s67                                    // 0000000071E0: 9238434F
	v_add_u32_e64 v82, v52, s56                                // 0000000071E4: D1340052 00007134
	v_mov_b32_e32 v83, 0                                       // 0000000071EC: 7EA60280
	s_mul_i32 s56, s80, s67                                    // 0000000071F0: 92384350
	v_add_u32_e64 v84, v52, s56                                // 0000000071F4: D1340054 00007134
	v_mov_b32_e32 v85, 0                                       // 0000000071FC: 7EAA0280
	s_mul_i32 s56, s81, s67                                    // 000000007200: 92384351
	v_add_u32_e64 v86, v52, s56                                // 000000007204: D1340056 00007134
	v_mov_b32_e32 v87, 0                                       // 00000000720C: 7EAE0280
	s_mul_i32 s56, s82, s67                                    // 000000007210: 92384352
	v_add_u32_e64 v88, v52, s56                                // 000000007214: D1340058 00007134
	v_mov_b32_e32 v89, 0                                       // 00000000721C: 7EB20280
	s_mul_i32 s56, s83, s67                                    // 000000007220: 92384353
	v_add_u32_e64 v90, v52, s56                                // 000000007224: D134005A 00007134
	v_mov_b32_e32 v91, 0                                       // 00000000722C: 7EB60280
	s_mul_i32 s56, s84, s67                                    // 000000007230: 92384354
	v_add_u32_e64 v92, v52, s56                                // 000000007234: D134005C 00007134
	v_mov_b32_e32 v93, 0                                       // 00000000723C: 7EBA0280
	s_mul_i32 s56, s85, s67                                    // 000000007240: 92384355
	v_add_u32_e64 v94, v52, s56                                // 000000007244: D134005E 00007134
	v_mov_b32_e32 v95, 0                                       // 00000000724C: 7EBE0280
	s_add_u32 s12, s52, s12                                    // 000000007250: 800C0C34
	s_addc_u32 s13, 0, s13                                     // 000000007254: 820D0D80
	s_add_u32 s16, s75, s16                                    // 000000007258: 8010104B
	s_addc_u32 s17, 0, s17                                     // 00000000725C: 82111180
	s_waitcnt lgkmcnt(0)                                       // 000000007260: BF8CC07F
	s_barrier                                                  // 000000007264: BF8A0000
	v_mov_b32_e32 v160, 0                                      // 000000007268: 7F400280
	v_mov_b32_e32 v192, 0                                      // 00000000726C: 7F800280
	v_mov_b32_e32 v161, 0                                      // 000000007270: 7F420280
	v_mov_b32_e32 v193, 0                                      // 000000007274: 7F820280
	v_mov_b32_e32 v162, 0                                      // 000000007278: 7F440280
	v_mov_b32_e32 v194, 0                                      // 00000000727C: 7F840280
	v_mov_b32_e32 v163, 0                                      // 000000007280: 7F460280
	v_mov_b32_e32 v195, 0                                      // 000000007284: 7F860280
	v_mov_b32_e32 v164, 0                                      // 000000007288: 7F480280
	v_mov_b32_e32 v196, 0                                      // 00000000728C: 7F880280
	v_mov_b32_e32 v165, 0                                      // 000000007290: 7F4A0280
	v_mov_b32_e32 v197, 0                                      // 000000007294: 7F8A0280
	v_mov_b32_e32 v166, 0                                      // 000000007298: 7F4C0280
	v_mov_b32_e32 v198, 0                                      // 00000000729C: 7F8C0280
	v_mov_b32_e32 v167, 0                                      // 0000000072A0: 7F4E0280
	v_mov_b32_e32 v199, 0                                      // 0000000072A4: 7F8E0280
	v_mov_b32_e32 v168, 0                                      // 0000000072A8: 7F500280
	v_mov_b32_e32 v200, 0                                      // 0000000072AC: 7F900280
	v_mov_b32_e32 v169, 0                                      // 0000000072B0: 7F520280
	v_mov_b32_e32 v201, 0                                      // 0000000072B4: 7F920280
	v_mov_b32_e32 v170, 0                                      // 0000000072B8: 7F540280
	v_mov_b32_e32 v202, 0                                      // 0000000072BC: 7F940280
	v_mov_b32_e32 v171, 0                                      // 0000000072C0: 7F560280
	v_mov_b32_e32 v203, 0                                      // 0000000072C4: 7F960280
	v_mov_b32_e32 v172, 0                                      // 0000000072C8: 7F580280
	v_mov_b32_e32 v204, 0                                      // 0000000072CC: 7F980280
	v_mov_b32_e32 v173, 0                                      // 0000000072D0: 7F5A0280
	v_mov_b32_e32 v205, 0                                      // 0000000072D4: 7F9A0280
	v_mov_b32_e32 v174, 0                                      // 0000000072D8: 7F5C0280
	v_mov_b32_e32 v206, 0                                      // 0000000072DC: 7F9C0280
	v_mov_b32_e32 v175, 0                                      // 0000000072E0: 7F5E0280
	v_mov_b32_e32 v207, 0                                      // 0000000072E4: 7F9E0280
	ds_write_b64 v4, v[160:161] offset:20992                   // 0000000072E8: D89A5200 0000A004
	ds_write_b64 v4, v[162:163] offset:29696                   // 0000000072F0: D89A7400 0000A204
	ds_write_b64 v4, v[164:165] offset:23168                   // 0000000072F8: D89A5A80 0000A404
	ds_write_b64 v4, v[166:167] offset:31872                   // 000000007300: D89A7C80 0000A604
	ds_write_b64 v4, v[168:169] offset:25344                   // 000000007308: D89A6300 0000A804
	ds_write_b64 v4, v[170:171] offset:34048                   // 000000007310: D89A8500 0000AA04
	ds_write_b64 v4, v[172:173] offset:27520                   // 000000007318: D89A6B80 0000AC04
	ds_write_b64 v4, v[174:175] offset:36224                   // 000000007320: D89A8D80 0000AE04
	s_mov_b32 s76, 0                                           // 000000007328: BECC0080
	s_waitcnt vmcnt(0) expcnt(0) lgkmcnt(0)                    // 00000000732C: BF8C0000

0000000000007330 <label_114C>:
	s_waitcnt vmcnt(12) lgkmcnt(0)                             // 000000007330: BF8C007C
	s_barrier                                                  // 000000007334: BF8A0000
	v_mfma_f32_16x16x128_f8f6f4 v[160:163], a[0:7], a[128:135], 0// 000000007338: D3AD00A0 1A030100
	buffer_load_dwordx4 a[64:67], v43, s[12:15], 0 offen       // 000000007340: E05C1000 8083402B
	buffer_load_dwordx4 a[68:71], v43, s[12:15], 0 offen offset:1024// 000000007348: E05C1400 8083442B
	v_mfma_f32_16x16x128_f8f6f4 v[164:167], a[0:7], a[144:151], 0// 000000007350: D3AD00A4 1A032100
	ds_read_b32 v64, v6 offset:20992                           // 000000007358: D86C5200 40000006
	ds_read_b32 v65, v6 offset:25344                           // 000000007360: D86C6300 41000006
	ds_read_b32 v66, v6 offset:21000                           // 000000007368: D86C5208 42000006
	ds_read_b32 v67, v6 offset:25352                           // 000000007370: D86C6308 43000006
	v_mfma_f32_16x16x128_f8f6f4 v[168:171], a[8:15], a[128:135], 0// 000000007378: D3AD00A8 1A030108
	buffer_load_dwordx4 a[72:75], v44, s[12:15], 0 offen       // 000000007380: E05C1000 8083482C
	buffer_load_dwordx4 a[76:79], v44, s[12:15], 0 offen offset:1024// 000000007388: E05C1400 80834C2C
	buffer_load_dword v30, v8, s[16:19], 0 offen               // 000000007390: E0501000 80041E08
	v_mfma_f32_16x16x128_f8f6f4 v[172:175], a[8:15], a[144:151], 0// 000000007398: D3AD00AC 1A032108
	ds_read_b32 v68, v6 offset:21024                           // 0000000073A0: D86C5220 44000006
	ds_read_b32 v69, v6 offset:25376                           // 0000000073A8: D86C6320 45000006
	ds_read_b32 v70, v6 offset:21032                           // 0000000073B0: D86C5228 46000006
	ds_read_b32 v71, v6 offset:25384                           // 0000000073B8: D86C6328 47000006
	s_waitcnt vmcnt(13)                                        // 0000000073C0: BF8C0F7D
	v_mfma_f32_16x16x128_f8f6f4 v[176:179], a[16:23], a[128:135], 0// 0000000073C4: D3AD00B0 1A030110
	buffer_load_dwordx4 a[80:83], v45, s[12:15], 0 offen       // 0000000073CC: E05C1000 8083502D
	buffer_load_dwordx4 a[84:87], v45, s[12:15], 0 offen offset:1024// 0000000073D4: E05C1400 8083542D
	v_mfma_f32_16x16x128_f8f6f4 v[180:183], a[16:23], a[144:151], 0// 0000000073DC: D3AD00B4 1A032110
	ds_read_b32 v72, v6 offset:29696                           // 0000000073E4: D86C7400 48000006
	ds_read_b32 v73, v6 offset:34048                           // 0000000073EC: D86C8500 49000006
	ds_read_b32 v74, v6 offset:29704                           // 0000000073F4: D86C7408 4A000006
	ds_read_b32 v75, v6 offset:34056                           // 0000000073FC: D86C8508 4B000006
	v_mfma_f32_16x16x128_f8f6f4 v[184:187], a[24:31], a[128:135], 0// 000000007404: D3AD00B8 1A030118
	buffer_load_dwordx4 a[88:91], v46, s[12:15], 0 offen       // 00000000740C: E05C1000 8083582E
	buffer_load_dwordx4 a[92:95], v46, s[12:15], 0 offen offset:1024// 000000007414: E05C1400 80835C2E
	s_add_u32 s12, s74, s12                                    // 00000000741C: 800C0C4A
	s_addc_u32 s13, 0, s13                                     // 000000007420: 820D0D80
	v_mfma_f32_16x16x128_f8f6f4 v[188:191], a[24:31], a[144:151], 0// 000000007424: D3AD00BC 1A032118
	ds_read_b32 v76, v6 offset:29728                           // 00000000742C: D86C7420 4C000006
	ds_read_b32 v77, v6 offset:34080                           // 000000007434: D86C8520 4D000006
	ds_read_b32 v78, v6 offset:29736                           // 00000000743C: D86C7428 4E000006
	ds_read_b32 v79, v6 offset:34088                           // 000000007444: D86C8528 4F000006
	v_mul_f32_dpp v52, v29, v21 row_newbcast:0 row_mask:0xf bank_mask:0xf// 00000000744C: 0A682AFA FF01501D
	v_mov_b32_e32 v53, v52                                     // 000000007454: 7E6A0334
	v_pk_mul_f32 v[160:161], v[52:53], v[160:161]              // 000000007458: D3B140A0 18034134
	v_pk_mul_f32 v[162:163], v[52:53], v[162:163]              // 000000007460: D3B140A2 18034534
	v_pk_mul_f32 v[168:169], v[52:53], v[168:169]              // 000000007468: D3B140A8 18035134
	v_pk_mul_f32 v[170:171], v[52:53], v[170:171]              // 000000007470: D3B140AA 18035534
	v_mul_f32_dpp v52, v29, v21 row_newbcast:1 row_mask:0xf bank_mask:0xf// 000000007478: 0A682AFA FF01511D
	v_mov_b32_e32 v53, v52                                     // 000000007480: 7E6A0334
	v_pk_mul_f32 v[176:177], v[52:53], v[176:177]              // 000000007484: D3B140B0 18036134
	v_pk_mul_f32 v[178:179], v[52:53], v[178:179]              // 00000000748C: D3B140B2 18036534
	v_pk_mul_f32 v[184:185], v[52:53], v[184:185]              // 000000007494: D3B140B8 18037134
	v_pk_mul_f32 v[186:187], v[52:53], v[186:187]              // 00000000749C: D3B140BA 18037534
	v_mul_f32_dpp v52, v29, v22 row_newbcast:0 row_mask:0xf bank_mask:0xf// 0000000074A4: 0A682CFA FF01501D
	v_mov_b32_e32 v53, v52                                     // 0000000074AC: 7E6A0334
	v_pk_mul_f32 v[164:165], v[52:53], v[164:165]              // 0000000074B0: D3B140A4 18034934
	v_pk_mul_f32 v[166:167], v[52:53], v[166:167]              // 0000000074B8: D3B140A6 18034D34
	v_pk_mul_f32 v[172:173], v[52:53], v[172:173]              // 0000000074C0: D3B140AC 18035934
	v_pk_mul_f32 v[174:175], v[52:53], v[174:175]              // 0000000074C8: D3B140AE 18035D34
	v_mul_f32_dpp v52, v29, v22 row_newbcast:1 row_mask:0xf bank_mask:0xf// 0000000074D0: 0A682CFA FF01511D
	v_mov_b32_e32 v53, v52                                     // 0000000074D8: 7E6A0334
	v_pk_mul_f32 v[180:181], v[52:53], v[180:181]              // 0000000074DC: D3B140B4 18036934
	v_pk_mul_f32 v[182:183], v[52:53], v[182:183]              // 0000000074E4: D3B140B6 18036D34
	v_pk_mul_f32 v[188:189], v[52:53], v[188:189]              // 0000000074EC: D3B140BC 18037934
	v_pk_mul_f32 v[190:191], v[52:53], v[190:191]              // 0000000074F4: D3B140BE 18037D34
	s_waitcnt vmcnt(13)                                        // 0000000074FC: BF8C0F7D
	v_mfma_f32_16x16x128_f8f6f4 v[128:131], a[32:39], a[136:143], 0// 000000007500: D3AD0080 1A031120
	buffer_load_dwordx4 a[96:99], v43, s[12:15], 0 offen       // 000000007508: E05C1000 8083602B
	buffer_load_dwordx4 a[100:103], v43, s[12:15], 0 offen offset:1024// 000000007510: E05C1400 8083642B
	v_mfma_f32_16x16x128_f8f6f4 v[132:135], a[32:39], a[152:159], 0// 000000007518: D3AD0084 1A033120
	ds_write_b64 v4, v[192:193] offset:38400                   // 000000007520: D89A9600 0000C004
	ds_write_b64 v4, v[194:195] offset:47104                   // 000000007528: D89AB800 0000C204
	v_mfma_f32_16x16x128_f8f6f4 v[136:139], a[40:47], a[136:143], 0// 000000007530: D3AD0088 1A031128
	buffer_load_dwordx4 a[104:107], v44, s[12:15], 0 offen     // 000000007538: E05C1000 8083682C
	buffer_load_dwordx4 a[108:111], v44, s[12:15], 0 offen offset:1024// 000000007540: E05C1400 80836C2C
	v_mfma_f32_16x16x128_f8f6f4 v[140:143], a[40:47], a[152:159], 0// 000000007548: D3AD008C 1A033128
	ds_write_b64 v4, v[196:197] offset:40576                   // 000000007550: D89A9E80 0000C404
	ds_write_b64 v4, v[198:199] offset:49280                   // 000000007558: D89AC080 0000C604
	s_waitcnt vmcnt(13)                                        // 000000007560: BF8C0F7D
	v_mfma_f32_16x16x128_f8f6f4 v[144:147], a[48:55], a[136:143], 0// 000000007564: D3AD0090 1A031130
	buffer_load_dwordx4 a[112:115], v45, s[12:15], 0 offen     // 00000000756C: E05C1000 8083702D
	buffer_load_dwordx4 a[116:119], v45, s[12:15], 0 offen offset:1024// 000000007574: E05C1400 8083742D
	v_mfma_f32_16x16x128_f8f6f4 v[148:151], a[48:55], a[152:159], 0// 00000000757C: D3AD0094 1A033130
	ds_write_b64 v4, v[200:201] offset:42752                   // 000000007584: D89AA700 0000C804
	ds_write_b64 v4, v[202:203] offset:51456                   // 00000000758C: D89AC900 0000CA04
	v_mfma_f32_16x16x128_f8f6f4 v[152:155], a[56:63], a[136:143], 0// 000000007594: D3AD0098 1A031138
	buffer_load_dwordx4 a[120:123], v46, s[12:15], 0 offen     // 00000000759C: E05C1000 8083782E
	buffer_load_dwordx4 a[124:127], v46, s[12:15], 0 offen offset:1024// 0000000075A4: E05C1400 80837C2E
	v_mfma_f32_16x16x128_f8f6f4 v[156:159], a[56:63], a[152:159], 0// 0000000075AC: D3AD009C 1A033138
	ds_write_b64 v4, v[204:205] offset:44928                   // 0000000075B4: D89AAF80 0000CC04
	ds_write_b64 v4, v[206:207] offset:53632                   // 0000000075BC: D89AD180 0000CE04
	v_mul_f32_dpp v52, v29, v23 row_newbcast:2 row_mask:0xf bank_mask:0xf// 0000000075C4: 0A682EFA FF01521D
	v_mov_b32_e32 v53, v52                                     // 0000000075CC: 7E6A0334
	v_pk_fma_f32 v[160:161], v[128:129], v[52:53], v[160:161]  // 0000000075D0: D3B040A0 1E826980
	v_pk_fma_f32 v[162:163], v[130:131], v[52:53], v[162:163]  // 0000000075D8: D3B040A2 1E8A6982
	v_pk_fma_f32 v[168:169], v[136:137], v[52:53], v[168:169]  // 0000000075E0: D3B040A8 1EA26988
	v_pk_fma_f32 v[170:171], v[138:139], v[52:53], v[170:171]  // 0000000075E8: D3B040AA 1EAA698A
	v_mul_f32_dpp v52, v29, v23 row_newbcast:3 row_mask:0xf bank_mask:0xf// 0000000075F0: 0A682EFA FF01531D
	v_mov_b32_e32 v53, v52                                     // 0000000075F8: 7E6A0334
	v_pk_fma_f32 v[176:177], v[144:145], v[52:53], v[176:177]  // 0000000075FC: D3B040B0 1EC26990
	v_pk_fma_f32 v[178:179], v[146:147], v[52:53], v[178:179]  // 000000007604: D3B040B2 1ECA6992
	v_pk_fma_f32 v[184:185], v[152:153], v[52:53], v[184:185]  // 00000000760C: D3B040B8 1EE26998
	v_pk_fma_f32 v[186:187], v[154:155], v[52:53], v[186:187]  // 000000007614: D3B040BA 1EEA699A
	v_mul_f32_dpp v52, v29, v24 row_newbcast:2 row_mask:0xf bank_mask:0xf// 00000000761C: 0A6830FA FF01521D
	v_mov_b32_e32 v53, v52                                     // 000000007624: 7E6A0334
	v_pk_fma_f32 v[164:165], v[132:133], v[52:53], v[164:165]  // 000000007628: D3B040A4 1E926984
	v_pk_fma_f32 v[166:167], v[134:135], v[52:53], v[166:167]  // 000000007630: D3B040A6 1E9A6986
	v_pk_fma_f32 v[172:173], v[140:141], v[52:53], v[172:173]  // 000000007638: D3B040AC 1EB2698C
	v_pk_fma_f32 v[174:175], v[142:143], v[52:53], v[174:175]  // 000000007640: D3B040AE 1EBA698E
	v_mul_f32_dpp v52, v29, v24 row_newbcast:3 row_mask:0xf bank_mask:0xf// 000000007648: 0A6830FA FF01531D
	v_mov_b32_e32 v53, v52                                     // 000000007650: 7E6A0334
	v_pk_fma_f32 v[180:181], v[148:149], v[52:53], v[180:181]  // 000000007654: D3B040B4 1ED26994
	v_pk_fma_f32 v[182:183], v[150:151], v[52:53], v[182:183]  // 00000000765C: D3B040B6 1EDA6996
	v_pk_fma_f32 v[188:189], v[156:157], v[52:53], v[188:189]  // 000000007664: D3B040BC 1EF2699C
	v_pk_fma_f32 v[190:191], v[158:159], v[52:53], v[190:191]  // 00000000766C: D3B040BE 1EFA699E
	s_add_u32 s56, 0x200, s76                                  // 000000007674: 80384CFF 00000200
	s_cmp_lt_u32 s56, s77                                      // 00000000767C: BF0A4D38
	s_cselect_b32 s52, s52, 0                                  // 000000007680: 85348034
	s_cselect_b32 s74, s74, 0                                  // 000000007684: 854A804A
	s_cselect_b32 s75, s75, 0                                  // 000000007688: 854B804B
	s_add_u32 s12, s52, s12                                    // 00000000768C: 800C0C34
	s_addc_u32 s13, 0, s13                                     // 000000007690: 820D0D80
	s_add_u32 s16, s75, s16                                    // 000000007694: 8010104B
	s_addc_u32 s17, 0, s17                                     // 000000007698: 82111180
	v_mov_b32_e32 v52, v31                                     // 00000000769C: 7E68031F
	v_mov_b32_e32 v53, v31                                     // 0000000076A0: 7E6A031F
	v_pk_mul_f32 v[160:161], v[52:53], v[160:161]              // 0000000076A4: D3B140A0 18034134
	v_pk_mul_f32 v[162:163], v[52:53], v[162:163]              // 0000000076AC: D3B140A2 18034534
	v_pk_mul_f32 v[168:169], v[52:53], v[168:169]              // 0000000076B4: D3B140A8 18035134
	v_pk_mul_f32 v[170:171], v[52:53], v[170:171]              // 0000000076BC: D3B140AA 18035534
	v_pk_mul_f32 v[176:177], v[52:53], v[176:177]              // 0000000076C4: D3B140B0 18036134
	v_pk_mul_f32 v[178:179], v[52:53], v[178:179]              // 0000000076CC: D3B140B2 18036534
	v_pk_mul_f32 v[184:185], v[52:53], v[184:185]              // 0000000076D4: D3B140B8 18037134
	v_pk_mul_f32 v[186:187], v[52:53], v[186:187]              // 0000000076DC: D3B140BA 18037534
	v_mov_b32_e32 v52, v32                                     // 0000000076E4: 7E680320
	v_mov_b32_e32 v53, v32                                     // 0000000076E8: 7E6A0320
	v_pk_mul_f32 v[164:165], v[52:53], v[164:165]              // 0000000076EC: D3B140A4 18034934
	v_pk_mul_f32 v[166:167], v[52:53], v[166:167]              // 0000000076F4: D3B140A6 18034D34
	v_pk_mul_f32 v[172:173], v[52:53], v[172:173]              // 0000000076FC: D3B140AC 18035934
	v_pk_mul_f32 v[174:175], v[52:53], v[174:175]              // 000000007704: D3B140AE 18035D34
	v_pk_mul_f32 v[180:181], v[52:53], v[180:181]              // 00000000770C: D3B140B4 18036934
	v_pk_mul_f32 v[182:183], v[52:53], v[182:183]              // 000000007714: D3B140B6 18036D34
	v_pk_mul_f32 v[188:189], v[52:53], v[188:189]              // 00000000771C: D3B140BC 18037934
	v_pk_mul_f32 v[190:191], v[52:53], v[190:191]              // 000000007724: D3B140BE 18037D34
	v_cvt_pk_bf16_f32 v160, v160, v161                         // 00000000772C: D26800A0 000343A0
	v_cvt_pk_bf16_f32 v161, v162, v163                         // 000000007734: D26800A1 000347A2
	v_cvt_pk_bf16_f32 v162, v164, v165                         // 00000000773C: D26800A2 00034BA4
	v_cvt_pk_bf16_f32 v163, v166, v167                         // 000000007744: D26800A3 00034FA6
	v_cvt_pk_bf16_f32 v164, v168, v169                         // 00000000774C: D26800A4 000353A8
	v_cvt_pk_bf16_f32 v165, v170, v171                         // 000000007754: D26800A5 000357AA
	v_cvt_pk_bf16_f32 v166, v172, v173                         // 00000000775C: D26800A6 00035BAC
	v_cvt_pk_bf16_f32 v167, v174, v175                         // 000000007764: D26800A7 00035FAE
	v_cvt_pk_bf16_f32 v168, v176, v177                         // 00000000776C: D26800A8 000363B0
	v_cvt_pk_bf16_f32 v169, v178, v179                         // 000000007774: D26800A9 000367B2
	v_cvt_pk_bf16_f32 v170, v180, v181                         // 00000000777C: D26800AA 00036BB4
	v_cvt_pk_bf16_f32 v171, v182, v183                         // 000000007784: D26800AB 00036FB6
	v_cvt_pk_bf16_f32 v172, v184, v185                         // 00000000778C: D26800AC 000373B8
	v_cvt_pk_bf16_f32 v173, v186, v187                         // 000000007794: D26800AD 000377BA
	v_cvt_pk_bf16_f32 v174, v188, v189                         // 00000000779C: D26800AE 00037BBC
	v_cvt_pk_bf16_f32 v175, v190, v191                         // 0000000077A4: D26800AF 00037FBE
	s_cmp_ge_u32 s76, 0x200                                    // 0000000077AC: BF09FF4C 00000200
	s_cselect_b32 s55, 0x200, s55                              // 0000000077B4: 853737FF 00000200
	s_setvskip s20, 0                                          // 0000000077BC: BF108014
	global_atomic_pk_add_bf16 v80, v64, s[8:9]                 // 0000000077C0: DD488000 00084050
	s_setvskip 0, 0                                            // 0000000077C8: BF108080
	s_setvskip s20, 0                                          // 0000000077CC: BF108014
	global_atomic_pk_add_bf16 v80, v65, s[8:9] offset:256      // 0000000077D0: DD488100 00084150
	s_setvskip 0, 0                                            // 0000000077D8: BF108080
	s_setvskip s20, 1                                          // 0000000077DC: BF108114
	global_atomic_pk_add_bf16 v82, v66, s[8:9]                 // 0000000077E0: DD488000 00084252
	s_setvskip 0, 0                                            // 0000000077E8: BF108080
	s_setvskip s20, 1                                          // 0000000077EC: BF108114
	global_atomic_pk_add_bf16 v82, v67, s[8:9] offset:256      // 0000000077F0: DD488100 00084352
	s_setvskip 0, 0                                            // 0000000077F8: BF108080
	s_setvskip s20, 2                                          // 0000000077FC: BF108214
	global_atomic_pk_add_bf16 v84, v68, s[8:9]                 // 000000007800: DD488000 00084454
	s_setvskip 0, 0                                            // 000000007808: BF108080
	s_setvskip s20, 2                                          // 00000000780C: BF108214
	global_atomic_pk_add_bf16 v84, v69, s[8:9] offset:256      // 000000007810: DD488100 00084554
	s_setvskip 0, 0                                            // 000000007818: BF108080
	s_setvskip s20, 3                                          // 00000000781C: BF108314
	global_atomic_pk_add_bf16 v86, v70, s[8:9]                 // 000000007820: DD488000 00084656
	s_setvskip 0, 0                                            // 000000007828: BF108080
	s_setvskip s20, 3                                          // 00000000782C: BF108314
	global_atomic_pk_add_bf16 v86, v71, s[8:9] offset:256      // 000000007830: DD488100 00084756
	s_setvskip 0, 0                                            // 000000007838: BF108080
	s_setvskip s20, 4                                          // 00000000783C: BF108414
	global_atomic_pk_add_bf16 v88, v72, s[8:9]                 // 000000007840: DD488000 00084858
	s_setvskip 0, 0                                            // 000000007848: BF108080
	s_setvskip s20, 4                                          // 00000000784C: BF108414
	global_atomic_pk_add_bf16 v88, v73, s[8:9] offset:256      // 000000007850: DD488100 00084958
	s_setvskip 0, 0                                            // 000000007858: BF108080
	s_setvskip s20, 5                                          // 00000000785C: BF108514
	global_atomic_pk_add_bf16 v90, v74, s[8:9]                 // 000000007860: DD488000 00084A5A
	s_setvskip 0, 0                                            // 000000007868: BF108080
	s_setvskip s20, 5                                          // 00000000786C: BF108514
	global_atomic_pk_add_bf16 v90, v75, s[8:9] offset:256      // 000000007870: DD488100 00084B5A
	s_setvskip 0, 0                                            // 000000007878: BF108080
	s_setvskip s20, 6                                          // 00000000787C: BF108614
	global_atomic_pk_add_bf16 v92, v76, s[8:9]                 // 000000007880: DD488000 00084C5C
	s_setvskip 0, 0                                            // 000000007888: BF108080
	s_setvskip s20, 6                                          // 00000000788C: BF108614
	global_atomic_pk_add_bf16 v92, v77, s[8:9] offset:256      // 000000007890: DD488100 00084D5C
	s_setvskip 0, 0                                            // 000000007898: BF108080
	s_setvskip s20, 7                                          // 00000000789C: BF108714
	global_atomic_pk_add_bf16 v94, v78, s[8:9]                 // 0000000078A0: DD488000 00084E5E
	s_setvskip 0, 0                                            // 0000000078A8: BF108080
	s_setvskip s20, 7                                          // 0000000078AC: BF108714
	global_atomic_pk_add_bf16 v94, v79, s[8:9] offset:256      // 0000000078B0: DD488100 00084F5E
	s_setvskip 0, 0                                            // 0000000078B8: BF108080
	s_add_u32 s8, s55, s8                                      // 0000000078BC: 80080837
	s_addc_u32 s9, 0, s9                                       // 0000000078C0: 82090980
	s_addk_i32 s76, 0x100                                      // 0000000078C4: B74C0100
	s_cmp_lt_i32 s76, s77                                      // 0000000078C8: BF044D4C
	s_cbranch_scc0 label_0B82                                  // 0000000078CC: BF84F8CE
	s_waitcnt vmcnt(12) lgkmcnt(0)                             // 0000000078D0: BF8C007C
	s_barrier                                                  // 0000000078D4: BF8A0000
	v_mfma_f32_16x16x128_f8f6f4 v[192:195], a[64:71], a[128:135], 0// 0000000078D8: D3AD00C0 1A030140
	buffer_load_dwordx4 a[0:3], v43, s[12:15], 0 offen         // 0000000078E0: E05C1000 8083002B
	buffer_load_dwordx4 a[4:7], v43, s[12:15], 0 offen offset:1024// 0000000078E8: E05C1400 8083042B
	v_mfma_f32_16x16x128_f8f6f4 v[196:199], a[64:71], a[144:151], 0// 0000000078F0: D3AD00C4 1A032140
	ds_read_b32 v64, v6 offset:38400                           // 0000000078F8: D86C9600 40000006
	ds_read_b32 v65, v6 offset:42752                           // 000000007900: D86CA700 41000006
	ds_read_b32 v66, v6 offset:38408                           // 000000007908: D86C9608 42000006
	ds_read_b32 v67, v6 offset:42760                           // 000000007910: D86CA708 43000006
	v_mfma_f32_16x16x128_f8f6f4 v[200:203], a[72:79], a[128:135], 0// 000000007918: D3AD00C8 1A030148
	buffer_load_dwordx4 a[8:11], v44, s[12:15], 0 offen        // 000000007920: E05C1000 8083082C
	buffer_load_dwordx4 a[12:15], v44, s[12:15], 0 offen offset:1024// 000000007928: E05C1400 80830C2C
	buffer_load_dword v29, v8, s[16:19], 0 offen               // 000000007930: E0501000 80041D08
	v_mfma_f32_16x16x128_f8f6f4 v[204:207], a[72:79], a[144:151], 0// 000000007938: D3AD00CC 1A032148
	ds_read_b32 v68, v6 offset:38432                           // 000000007940: D86C9620 44000006
	ds_read_b32 v69, v6 offset:42784                           // 000000007948: D86CA720 45000006
	ds_read_b32 v70, v6 offset:38440                           // 000000007950: D86C9628 46000006
	ds_read_b32 v71, v6 offset:42792                           // 000000007958: D86CA728 47000006
	s_waitcnt vmcnt(13)                                        // 000000007960: BF8C0F7D
	v_mfma_f32_16x16x128_f8f6f4 v[208:211], a[80:87], a[128:135], 0// 000000007964: D3AD00D0 1A030150
	buffer_load_dwordx4 a[16:19], v45, s[12:15], 0 offen       // 00000000796C: E05C1000 8083102D
	buffer_load_dwordx4 a[20:23], v45, s[12:15], 0 offen offset:1024// 000000007974: E05C1400 8083142D
	v_mfma_f32_16x16x128_f8f6f4 v[212:215], a[80:87], a[144:151], 0// 00000000797C: D3AD00D4 1A032150
	ds_read_b32 v72, v6 offset:47104                           // 000000007984: D86CB800 48000006
	ds_read_b32 v73, v6 offset:51456                           // 00000000798C: D86CC900 49000006
	ds_read_b32 v74, v6 offset:47112                           // 000000007994: D86CB808 4A000006
	ds_read_b32 v75, v6 offset:51464                           // 00000000799C: D86CC908 4B000006
	v_mfma_f32_16x16x128_f8f6f4 v[216:219], a[88:95], a[128:135], 0// 0000000079A4: D3AD00D8 1A030158
	buffer_load_dwordx4 a[24:27], v46, s[12:15], 0 offen       // 0000000079AC: E05C1000 8083182E
	buffer_load_dwordx4 a[28:31], v46, s[12:15], 0 offen offset:1024// 0000000079B4: E05C1400 80831C2E
	s_add_u32 s12, s74, s12                                    // 0000000079BC: 800C0C4A
	s_addc_u32 s13, 0, s13                                     // 0000000079C0: 820D0D80
	v_mfma_f32_16x16x128_f8f6f4 v[220:223], a[88:95], a[144:151], 0// 0000000079C4: D3AD00DC 1A032158
	ds_read_b32 v76, v6 offset:47136                           // 0000000079CC: D86CB820 4C000006
	ds_read_b32 v77, v6 offset:51488                           // 0000000079D4: D86CC920 4D000006
	ds_read_b32 v78, v6 offset:47144                           // 0000000079DC: D86CB828 4E000006
	ds_read_b32 v79, v6 offset:51496                           // 0000000079E4: D86CC928 4F000006
	v_mul_f32_dpp v52, v30, v21 row_newbcast:0 row_mask:0xf bank_mask:0xf// 0000000079EC: 0A682AFA FF01501E
	v_mov_b32_e32 v53, v52                                     // 0000000079F4: 7E6A0334
	v_pk_mul_f32 v[192:193], v[52:53], v[192:193]              // 0000000079F8: D3B140C0 18038134
	v_pk_mul_f32 v[194:195], v[52:53], v[194:195]              // 000000007A00: D3B140C2 18038534
	v_pk_mul_f32 v[200:201], v[52:53], v[200:201]              // 000000007A08: D3B140C8 18039134
	v_pk_mul_f32 v[202:203], v[52:53], v[202:203]              // 000000007A10: D3B140CA 18039534
	v_mul_f32_dpp v52, v30, v21 row_newbcast:1 row_mask:0xf bank_mask:0xf// 000000007A18: 0A682AFA FF01511E
	v_mov_b32_e32 v53, v52                                     // 000000007A20: 7E6A0334
	v_pk_mul_f32 v[208:209], v[52:53], v[208:209]              // 000000007A24: D3B140D0 1803A134
	v_pk_mul_f32 v[210:211], v[52:53], v[210:211]              // 000000007A2C: D3B140D2 1803A534
	v_pk_mul_f32 v[216:217], v[52:53], v[216:217]              // 000000007A34: D3B140D8 1803B134
	v_pk_mul_f32 v[218:219], v[52:53], v[218:219]              // 000000007A3C: D3B140DA 1803B534
	v_mul_f32_dpp v52, v30, v22 row_newbcast:0 row_mask:0xf bank_mask:0xf// 000000007A44: 0A682CFA FF01501E
	v_mov_b32_e32 v53, v52                                     // 000000007A4C: 7E6A0334
	v_pk_mul_f32 v[196:197], v[52:53], v[196:197]              // 000000007A50: D3B140C4 18038934
	v_pk_mul_f32 v[198:199], v[52:53], v[198:199]              // 000000007A58: D3B140C6 18038D34
	v_pk_mul_f32 v[204:205], v[52:53], v[204:205]              // 000000007A60: D3B140CC 18039934
	v_pk_mul_f32 v[206:207], v[52:53], v[206:207]              // 000000007A68: D3B140CE 18039D34
	v_mul_f32_dpp v52, v30, v22 row_newbcast:1 row_mask:0xf bank_mask:0xf// 000000007A70: 0A682CFA FF01511E
	v_mov_b32_e32 v53, v52                                     // 000000007A78: 7E6A0334
	v_pk_mul_f32 v[212:213], v[52:53], v[212:213]              // 000000007A7C: D3B140D4 1803A934
	v_pk_mul_f32 v[214:215], v[52:53], v[214:215]              // 000000007A84: D3B140D6 1803AD34
	v_pk_mul_f32 v[220:221], v[52:53], v[220:221]              // 000000007A8C: D3B140DC 1803B934
	v_pk_mul_f32 v[222:223], v[52:53], v[222:223]              // 000000007A94: D3B140DE 1803BD34
	s_waitcnt vmcnt(13)                                        // 000000007A9C: BF8C0F7D
	v_mfma_f32_16x16x128_f8f6f4 v[128:131], a[96:103], a[136:143], 0// 000000007AA0: D3AD0080 1A031160
	buffer_load_dwordx4 a[32:35], v43, s[12:15], 0 offen       // 000000007AA8: E05C1000 8083202B
	buffer_load_dwordx4 a[36:39], v43, s[12:15], 0 offen offset:1024// 000000007AB0: E05C1400 8083242B
	v_mfma_f32_16x16x128_f8f6f4 v[132:135], a[96:103], a[152:159], 0// 000000007AB8: D3AD0084 1A033160
	ds_write_b64 v4, v[160:161] offset:20992                   // 000000007AC0: D89A5200 0000A004
	ds_write_b64 v4, v[162:163] offset:29696                   // 000000007AC8: D89A7400 0000A204
	v_mfma_f32_16x16x128_f8f6f4 v[136:139], a[104:111], a[136:143], 0// 000000007AD0: D3AD0088 1A031168
	buffer_load_dwordx4 a[40:43], v44, s[12:15], 0 offen       // 000000007AD8: E05C1000 8083282C
	buffer_load_dwordx4 a[44:47], v44, s[12:15], 0 offen offset:1024// 000000007AE0: E05C1400 80832C2C
	v_mfma_f32_16x16x128_f8f6f4 v[140:143], a[104:111], a[152:159], 0// 000000007AE8: D3AD008C 1A033168
	ds_write_b64 v4, v[164:165] offset:23168                   // 000000007AF0: D89A5A80 0000A404
	ds_write_b64 v4, v[166:167] offset:31872                   // 000000007AF8: D89A7C80 0000A604
	s_waitcnt vmcnt(13)                                        // 000000007B00: BF8C0F7D
	v_mfma_f32_16x16x128_f8f6f4 v[144:147], a[112:119], a[136:143], 0// 000000007B04: D3AD0090 1A031170
	buffer_load_dwordx4 a[48:51], v45, s[12:15], 0 offen       // 000000007B0C: E05C1000 8083302D
	buffer_load_dwordx4 a[52:55], v45, s[12:15], 0 offen offset:1024// 000000007B14: E05C1400 8083342D
	v_mfma_f32_16x16x128_f8f6f4 v[148:151], a[112:119], a[152:159], 0// 000000007B1C: D3AD0094 1A033170
	ds_write_b64 v4, v[168:169] offset:25344                   // 000000007B24: D89A6300 0000A804
	ds_write_b64 v4, v[170:171] offset:34048                   // 000000007B2C: D89A8500 0000AA04
	v_mfma_f32_16x16x128_f8f6f4 v[152:155], a[120:127], a[136:143], 0// 000000007B34: D3AD0098 1A031178
	buffer_load_dwordx4 a[56:59], v46, s[12:15], 0 offen       // 000000007B3C: E05C1000 8083382E
	buffer_load_dwordx4 a[60:63], v46, s[12:15], 0 offen offset:1024// 000000007B44: E05C1400 80833C2E
	v_mfma_f32_16x16x128_f8f6f4 v[156:159], a[120:127], a[152:159], 0// 000000007B4C: D3AD009C 1A033178
	ds_write_b64 v4, v[172:173] offset:27520                   // 000000007B54: D89A6B80 0000AC04
	ds_write_b64 v4, v[174:175] offset:36224                   // 000000007B5C: D89A8D80 0000AE04
	v_mul_f32_dpp v52, v30, v23 row_newbcast:2 row_mask:0xf bank_mask:0xf// 000000007B64: 0A682EFA FF01521E
	v_mov_b32_e32 v53, v52                                     // 000000007B6C: 7E6A0334
	v_pk_fma_f32 v[192:193], v[128:129], v[52:53], v[192:193]  // 000000007B70: D3B040C0 1F026980
	v_pk_fma_f32 v[194:195], v[130:131], v[52:53], v[194:195]  // 000000007B78: D3B040C2 1F0A6982
	v_pk_fma_f32 v[200:201], v[136:137], v[52:53], v[200:201]  // 000000007B80: D3B040C8 1F226988
	v_pk_fma_f32 v[202:203], v[138:139], v[52:53], v[202:203]  // 000000007B88: D3B040CA 1F2A698A
	v_mul_f32_dpp v52, v30, v23 row_newbcast:3 row_mask:0xf bank_mask:0xf// 000000007B90: 0A682EFA FF01531E
	v_mov_b32_e32 v53, v52                                     // 000000007B98: 7E6A0334
	v_pk_fma_f32 v[208:209], v[144:145], v[52:53], v[208:209]  // 000000007B9C: D3B040D0 1F426990
	v_pk_fma_f32 v[210:211], v[146:147], v[52:53], v[210:211]  // 000000007BA4: D3B040D2 1F4A6992
	v_pk_fma_f32 v[216:217], v[152:153], v[52:53], v[216:217]  // 000000007BAC: D3B040D8 1F626998
	v_pk_fma_f32 v[218:219], v[154:155], v[52:53], v[218:219]  // 000000007BB4: D3B040DA 1F6A699A
	v_mul_f32_dpp v52, v30, v24 row_newbcast:2 row_mask:0xf bank_mask:0xf// 000000007BBC: 0A6830FA FF01521E
	v_mov_b32_e32 v53, v52                                     // 000000007BC4: 7E6A0334
	v_pk_fma_f32 v[196:197], v[132:133], v[52:53], v[196:197]  // 000000007BC8: D3B040C4 1F126984
	v_pk_fma_f32 v[198:199], v[134:135], v[52:53], v[198:199]  // 000000007BD0: D3B040C6 1F1A6986
	v_pk_fma_f32 v[204:205], v[140:141], v[52:53], v[204:205]  // 000000007BD8: D3B040CC 1F32698C
	v_pk_fma_f32 v[206:207], v[142:143], v[52:53], v[206:207]  // 000000007BE0: D3B040CE 1F3A698E
	v_mul_f32_dpp v52, v30, v24 row_newbcast:3 row_mask:0xf bank_mask:0xf// 000000007BE8: 0A6830FA FF01531E
	v_mov_b32_e32 v53, v52                                     // 000000007BF0: 7E6A0334
	v_pk_fma_f32 v[212:213], v[148:149], v[52:53], v[212:213]  // 000000007BF4: D3B040D4 1F526994
	v_pk_fma_f32 v[214:215], v[150:151], v[52:53], v[214:215]  // 000000007BFC: D3B040D6 1F5A6996
	v_pk_fma_f32 v[220:221], v[156:157], v[52:53], v[220:221]  // 000000007C04: D3B040DC 1F72699C
	v_pk_fma_f32 v[222:223], v[158:159], v[52:53], v[222:223]  // 000000007C0C: D3B040DE 1F7A699E
	s_add_u32 s56, 0x200, s76                                  // 000000007C14: 80384CFF 00000200
	s_cmp_lt_u32 s56, s77                                      // 000000007C1C: BF0A4D38
	s_cselect_b32 s52, s52, 0                                  // 000000007C20: 85348034
	s_cselect_b32 s74, s74, 0                                  // 000000007C24: 854A804A
	s_cselect_b32 s75, s75, 0                                  // 000000007C28: 854B804B
	s_add_u32 s12, s52, s12                                    // 000000007C2C: 800C0C34
	s_addc_u32 s13, 0, s13                                     // 000000007C30: 820D0D80
	s_add_u32 s16, s75, s16                                    // 000000007C34: 8010104B
	s_addc_u32 s17, 0, s17                                     // 000000007C38: 82111180
	v_mov_b32_e32 v52, v31                                     // 000000007C3C: 7E68031F
	v_mov_b32_e32 v53, v31                                     // 000000007C40: 7E6A031F
	v_pk_mul_f32 v[192:193], v[52:53], v[192:193]              // 000000007C44: D3B140C0 18038134
	v_pk_mul_f32 v[194:195], v[52:53], v[194:195]              // 000000007C4C: D3B140C2 18038534
	v_pk_mul_f32 v[200:201], v[52:53], v[200:201]              // 000000007C54: D3B140C8 18039134
	v_pk_mul_f32 v[202:203], v[52:53], v[202:203]              // 000000007C5C: D3B140CA 18039534
	v_pk_mul_f32 v[208:209], v[52:53], v[208:209]              // 000000007C64: D3B140D0 1803A134
	v_pk_mul_f32 v[210:211], v[52:53], v[210:211]              // 000000007C6C: D3B140D2 1803A534
	v_pk_mul_f32 v[216:217], v[52:53], v[216:217]              // 000000007C74: D3B140D8 1803B134
	v_pk_mul_f32 v[218:219], v[52:53], v[218:219]              // 000000007C7C: D3B140DA 1803B534
	v_mov_b32_e32 v52, v32                                     // 000000007C84: 7E680320
	v_mov_b32_e32 v53, v32                                     // 000000007C88: 7E6A0320
	v_pk_mul_f32 v[196:197], v[52:53], v[196:197]              // 000000007C8C: D3B140C4 18038934
	v_pk_mul_f32 v[198:199], v[52:53], v[198:199]              // 000000007C94: D3B140C6 18038D34
	v_pk_mul_f32 v[204:205], v[52:53], v[204:205]              // 000000007C9C: D3B140CC 18039934
	v_pk_mul_f32 v[206:207], v[52:53], v[206:207]              // 000000007CA4: D3B140CE 18039D34
	v_pk_mul_f32 v[212:213], v[52:53], v[212:213]              // 000000007CAC: D3B140D4 1803A934
	v_pk_mul_f32 v[214:215], v[52:53], v[214:215]              // 000000007CB4: D3B140D6 1803AD34
	v_pk_mul_f32 v[220:221], v[52:53], v[220:221]              // 000000007CBC: D3B140DC 1803B934
	v_pk_mul_f32 v[222:223], v[52:53], v[222:223]              // 000000007CC4: D3B140DE 1803BD34
	v_cvt_pk_bf16_f32 v192, v192, v193                         // 000000007CCC: D26800C0 000383C0
	v_cvt_pk_bf16_f32 v193, v194, v195                         // 000000007CD4: D26800C1 000387C2
	v_cvt_pk_bf16_f32 v194, v196, v197                         // 000000007CDC: D26800C2 00038BC4
	v_cvt_pk_bf16_f32 v195, v198, v199                         // 000000007CE4: D26800C3 00038FC6
	v_cvt_pk_bf16_f32 v196, v200, v201                         // 000000007CEC: D26800C4 000393C8
	v_cvt_pk_bf16_f32 v197, v202, v203                         // 000000007CF4: D26800C5 000397CA
	v_cvt_pk_bf16_f32 v198, v204, v205                         // 000000007CFC: D26800C6 00039BCC
	v_cvt_pk_bf16_f32 v199, v206, v207                         // 000000007D04: D26800C7 00039FCE
	v_cvt_pk_bf16_f32 v200, v208, v209                         // 000000007D0C: D26800C8 0003A3D0
	v_cvt_pk_bf16_f32 v201, v210, v211                         // 000000007D14: D26800C9 0003A7D2
	v_cvt_pk_bf16_f32 v202, v212, v213                         // 000000007D1C: D26800CA 0003ABD4
	v_cvt_pk_bf16_f32 v203, v214, v215                         // 000000007D24: D26800CB 0003AFD6
	v_cvt_pk_bf16_f32 v204, v216, v217                         // 000000007D2C: D26800CC 0003B3D8
	v_cvt_pk_bf16_f32 v205, v218, v219                         // 000000007D34: D26800CD 0003B7DA
	v_cvt_pk_bf16_f32 v206, v220, v221                         // 000000007D3C: D26800CE 0003BBDC
	v_cvt_pk_bf16_f32 v207, v222, v223                         // 000000007D44: D26800CF 0003BFDE
	s_cmp_ge_u32 s76, 0x200                                    // 000000007D4C: BF09FF4C 00000200
	s_cselect_b32 s55, 0x200, s55                              // 000000007D54: 853737FF 00000200
	s_setvskip s20, 0                                          // 000000007D5C: BF108014
	global_atomic_pk_add_bf16 v80, v64, s[8:9]                 // 000000007D60: DD488000 00084050
	s_setvskip 0, 0                                            // 000000007D68: BF108080
	s_setvskip s20, 0                                          // 000000007D6C: BF108014
	global_atomic_pk_add_bf16 v80, v65, s[8:9] offset:256      // 000000007D70: DD488100 00084150
	s_setvskip 0, 0                                            // 000000007D78: BF108080
	s_setvskip s20, 1                                          // 000000007D7C: BF108114
	global_atomic_pk_add_bf16 v82, v66, s[8:9]                 // 000000007D80: DD488000 00084252
	s_setvskip 0, 0                                            // 000000007D88: BF108080
	s_setvskip s20, 1                                          // 000000007D8C: BF108114
	global_atomic_pk_add_bf16 v82, v67, s[8:9] offset:256      // 000000007D90: DD488100 00084352
	s_setvskip 0, 0                                            // 000000007D98: BF108080
	s_setvskip s20, 2                                          // 000000007D9C: BF108214
	global_atomic_pk_add_bf16 v84, v68, s[8:9]                 // 000000007DA0: DD488000 00084454
	s_setvskip 0, 0                                            // 000000007DA8: BF108080
	s_setvskip s20, 2                                          // 000000007DAC: BF108214
	global_atomic_pk_add_bf16 v84, v69, s[8:9] offset:256      // 000000007DB0: DD488100 00084554
	s_setvskip 0, 0                                            // 000000007DB8: BF108080
	s_setvskip s20, 3                                          // 000000007DBC: BF108314
	global_atomic_pk_add_bf16 v86, v70, s[8:9]                 // 000000007DC0: DD488000 00084656
	s_setvskip 0, 0                                            // 000000007DC8: BF108080
	s_setvskip s20, 3                                          // 000000007DCC: BF108314
	global_atomic_pk_add_bf16 v86, v71, s[8:9] offset:256      // 000000007DD0: DD488100 00084756
	s_setvskip 0, 0                                            // 000000007DD8: BF108080
	s_setvskip s20, 4                                          // 000000007DDC: BF108414
	global_atomic_pk_add_bf16 v88, v72, s[8:9]                 // 000000007DE0: DD488000 00084858
	s_setvskip 0, 0                                            // 000000007DE8: BF108080
	s_setvskip s20, 4                                          // 000000007DEC: BF108414
	global_atomic_pk_add_bf16 v88, v73, s[8:9] offset:256      // 000000007DF0: DD488100 00084958
	s_setvskip 0, 0                                            // 000000007DF8: BF108080
	s_setvskip s20, 5                                          // 000000007DFC: BF108514
	global_atomic_pk_add_bf16 v90, v74, s[8:9]                 // 000000007E00: DD488000 00084A5A
	s_setvskip 0, 0                                            // 000000007E08: BF108080
	s_setvskip s20, 5                                          // 000000007E0C: BF108514
	global_atomic_pk_add_bf16 v90, v75, s[8:9] offset:256      // 000000007E10: DD488100 00084B5A
	s_setvskip 0, 0                                            // 000000007E18: BF108080
	s_setvskip s20, 6                                          // 000000007E1C: BF108614
	global_atomic_pk_add_bf16 v92, v76, s[8:9]                 // 000000007E20: DD488000 00084C5C
	s_setvskip 0, 0                                            // 000000007E28: BF108080
	s_setvskip s20, 6                                          // 000000007E2C: BF108614
	global_atomic_pk_add_bf16 v92, v77, s[8:9] offset:256      // 000000007E30: DD488100 00084D5C
	s_setvskip 0, 0                                            // 000000007E38: BF108080
	s_setvskip s20, 7                                          // 000000007E3C: BF108714
	global_atomic_pk_add_bf16 v94, v78, s[8:9]                 // 000000007E40: DD488000 00084E5E
	s_setvskip 0, 0                                            // 000000007E48: BF108080
	s_setvskip s20, 7                                          // 000000007E4C: BF108714
	global_atomic_pk_add_bf16 v94, v79, s[8:9] offset:256      // 000000007E50: DD488100 00084F5E
	s_setvskip 0, 0                                            // 000000007E58: BF108080
	s_add_u32 s8, s55, s8                                      // 000000007E5C: 80080837
	s_addc_u32 s9, 0, s9                                       // 000000007E60: 82090980
	s_addk_i32 s76, 0x100                                      // 000000007E64: B74C0100
	s_cmp_lt_i32 s76, s77                                      // 000000007E68: BF044D4C
	s_cbranch_scc0 label_0B82                                  // 000000007E6C: BF84F766
	s_branch label_114C                                        // 000000007E70: BF82FD2F

0000000000007e74 <label_141D>:
	s_cmp_ge_u32 s55, 0                                        // 000000007E74: BF098037
	s_cselect_b32 s55, 0x200, s55                              // 000000007E78: 853737FF 00000200
	s_waitcnt lgkmcnt(0)                                       // 000000007E80: BF8CC07F
	s_barrier                                                  // 000000007E84: BF8A0000
	s_cmp_eq_u32 s60, 0x100                                    // 000000007E88: BF06FF3C 00000100
	s_cbranch_scc0 label_1499                                  // 000000007E90: BF840074
	ds_write_b64 v4, v[160:161] offset:20992                   // 000000007E94: D89A5200 0000A004
	ds_write_b64 v4, v[162:163] offset:29696                   // 000000007E9C: D89A7400 0000A204
	ds_write_b64 v4, v[164:165] offset:23168                   // 000000007EA4: D89A5A80 0000A404
	ds_write_b64 v4, v[166:167] offset:31872                   // 000000007EAC: D89A7C80 0000A604
	ds_write_b64 v4, v[168:169] offset:25344                   // 000000007EB4: D89A6300 0000A804
	ds_write_b64 v4, v[170:171] offset:34048                   // 000000007EBC: D89A8500 0000AA04
	ds_write_b64 v4, v[172:173] offset:27520                   // 000000007EC4: D89A6B80 0000AC04
	ds_write_b64 v4, v[174:175] offset:36224                   // 000000007ECC: D89A8D80 0000AE04
	s_waitcnt lgkmcnt(0)                                       // 000000007ED4: BF8CC07F
	s_barrier                                                  // 000000007ED8: BF8A0000
	ds_read_b32 v64, v6 offset:20992                           // 000000007EDC: D86C5200 40000006
	ds_read_b32 v65, v6 offset:25344                           // 000000007EE4: D86C6300 41000006
	ds_read_b32 v66, v6 offset:21000                           // 000000007EEC: D86C5208 42000006
	ds_read_b32 v67, v6 offset:25352                           // 000000007EF4: D86C6308 43000006
	ds_read_b32 v68, v6 offset:21024                           // 000000007EFC: D86C5220 44000006
	ds_read_b32 v69, v6 offset:25376                           // 000000007F04: D86C6320 45000006
	ds_read_b32 v70, v6 offset:21032                           // 000000007F0C: D86C5228 46000006
	ds_read_b32 v71, v6 offset:25384                           // 000000007F14: D86C6328 47000006
	ds_read_b32 v72, v6 offset:29696                           // 000000007F1C: D86C7400 48000006
	ds_read_b32 v73, v6 offset:34048                           // 000000007F24: D86C8500 49000006
	ds_read_b32 v74, v6 offset:29704                           // 000000007F2C: D86C7408 4A000006
	ds_read_b32 v75, v6 offset:34056                           // 000000007F34: D86C8508 4B000006
	ds_read_b32 v76, v6 offset:29728                           // 000000007F3C: D86C7420 4C000006
	ds_read_b32 v77, v6 offset:34080                           // 000000007F44: D86C8520 4D000006
	ds_read_b32 v78, v6 offset:29736                           // 000000007F4C: D86C7428 4E000006
	ds_read_b32 v79, v6 offset:34088                           // 000000007F54: D86C8528 4F000006
	s_waitcnt lgkmcnt(0)                                       // 000000007F5C: BF8CC07F
	s_setvskip s20, 0                                          // 000000007F60: BF108014
	global_atomic_pk_add_bf16 v80, v64, s[8:9]                 // 000000007F64: DD488000 00084050
	s_setvskip 0, 0                                            // 000000007F6C: BF108080
	s_setvskip s20, 0                                          // 000000007F70: BF108014
	global_atomic_pk_add_bf16 v80, v65, s[8:9] offset:256      // 000000007F74: DD488100 00084150
	s_setvskip 0, 0                                            // 000000007F7C: BF108080
	s_setvskip s20, 1                                          // 000000007F80: BF108114
	global_atomic_pk_add_bf16 v82, v66, s[8:9]                 // 000000007F84: DD488000 00084252
	s_setvskip 0, 0                                            // 000000007F8C: BF108080
	s_setvskip s20, 1                                          // 000000007F90: BF108114
	global_atomic_pk_add_bf16 v82, v67, s[8:9] offset:256      // 000000007F94: DD488100 00084352
	s_setvskip 0, 0                                            // 000000007F9C: BF108080
	s_setvskip s20, 2                                          // 000000007FA0: BF108214
	global_atomic_pk_add_bf16 v84, v68, s[8:9]                 // 000000007FA4: DD488000 00084454
	s_setvskip 0, 0                                            // 000000007FAC: BF108080
	s_setvskip s20, 2                                          // 000000007FB0: BF108214
	global_atomic_pk_add_bf16 v84, v69, s[8:9] offset:256      // 000000007FB4: DD488100 00084554
	s_setvskip 0, 0                                            // 000000007FBC: BF108080
	s_setvskip s20, 3                                          // 000000007FC0: BF108314
	global_atomic_pk_add_bf16 v86, v70, s[8:9]                 // 000000007FC4: DD488000 00084656
	s_setvskip 0, 0                                            // 000000007FCC: BF108080
	s_setvskip s20, 3                                          // 000000007FD0: BF108314
	global_atomic_pk_add_bf16 v86, v71, s[8:9] offset:256      // 000000007FD4: DD488100 00084756
	s_setvskip 0, 0                                            // 000000007FDC: BF108080
	s_setvskip s20, 4                                          // 000000007FE0: BF108414
	global_atomic_pk_add_bf16 v88, v72, s[8:9]                 // 000000007FE4: DD488000 00084858
	s_setvskip 0, 0                                            // 000000007FEC: BF108080
	s_setvskip s20, 4                                          // 000000007FF0: BF108414
	global_atomic_pk_add_bf16 v88, v73, s[8:9] offset:256      // 000000007FF4: DD488100 00084958
	s_setvskip 0, 0                                            // 000000007FFC: BF108080
	s_setvskip s20, 5                                          // 000000008000: BF108514
	global_atomic_pk_add_bf16 v90, v74, s[8:9]                 // 000000008004: DD488000 00084A5A
	s_setvskip 0, 0                                            // 00000000800C: BF108080
	s_setvskip s20, 5                                          // 000000008010: BF108514
	global_atomic_pk_add_bf16 v90, v75, s[8:9] offset:256      // 000000008014: DD488100 00084B5A
	s_setvskip 0, 0                                            // 00000000801C: BF108080
	s_setvskip s20, 6                                          // 000000008020: BF108614
	global_atomic_pk_add_bf16 v92, v76, s[8:9]                 // 000000008024: DD488000 00084C5C
	s_setvskip 0, 0                                            // 00000000802C: BF108080
	s_setvskip s20, 6                                          // 000000008030: BF108614
	global_atomic_pk_add_bf16 v92, v77, s[8:9] offset:256      // 000000008034: DD488100 00084D5C
	s_setvskip 0, 0                                            // 00000000803C: BF108080
	s_setvskip s20, 7                                          // 000000008040: BF108714
	global_atomic_pk_add_bf16 v94, v78, s[8:9]                 // 000000008044: DD488000 00084E5E
	s_setvskip 0, 0                                            // 00000000804C: BF108080
	s_setvskip s20, 7                                          // 000000008050: BF108714
	global_atomic_pk_add_bf16 v94, v79, s[8:9] offset:256      // 000000008054: DD488100 00084F5E
	s_setvskip 0, 0                                            // 00000000805C: BF108080
	s_branch label_156F                                        // 000000008060: BF8200D6

0000000000008064 <label_1499>:
	ds_read_b32 v64, v6 offset:20992                           // 000000008064: D86C5200 40000006
	ds_read_b32 v65, v6 offset:25344                           // 00000000806C: D86C6300 41000006
	ds_read_b32 v66, v6 offset:21000                           // 000000008074: D86C5208 42000006
	ds_read_b32 v67, v6 offset:25352                           // 00000000807C: D86C6308 43000006
	ds_read_b32 v68, v6 offset:21024                           // 000000008084: D86C5220 44000006
	ds_read_b32 v69, v6 offset:25376                           // 00000000808C: D86C6320 45000006
	ds_read_b32 v70, v6 offset:21032                           // 000000008094: D86C5228 46000006
	ds_read_b32 v71, v6 offset:25384                           // 00000000809C: D86C6328 47000006
	ds_read_b32 v72, v6 offset:29696                           // 0000000080A4: D86C7400 48000006
	ds_read_b32 v73, v6 offset:34048                           // 0000000080AC: D86C8500 49000006
	ds_read_b32 v74, v6 offset:29704                           // 0000000080B4: D86C7408 4A000006
	ds_read_b32 v75, v6 offset:34056                           // 0000000080BC: D86C8508 4B000006
	ds_read_b32 v76, v6 offset:29728                           // 0000000080C4: D86C7420 4C000006
	ds_read_b32 v77, v6 offset:34080                           // 0000000080CC: D86C8520 4D000006
	ds_read_b32 v78, v6 offset:29736                           // 0000000080D4: D86C7428 4E000006
	ds_read_b32 v79, v6 offset:34088                           // 0000000080DC: D86C8528 4F000006
	s_waitcnt lgkmcnt(0)                                       // 0000000080E4: BF8CC07F
	s_setvskip s20, 0                                          // 0000000080E8: BF108014
	global_atomic_pk_add_bf16 v80, v64, s[8:9]                 // 0000000080EC: DD488000 00084050
	s_setvskip 0, 0                                            // 0000000080F4: BF108080
	s_setvskip s20, 0                                          // 0000000080F8: BF108014
	global_atomic_pk_add_bf16 v80, v65, s[8:9] offset:256      // 0000000080FC: DD488100 00084150
	s_setvskip 0, 0                                            // 000000008104: BF108080
	s_setvskip s20, 1                                          // 000000008108: BF108114
	global_atomic_pk_add_bf16 v82, v66, s[8:9]                 // 00000000810C: DD488000 00084252
	s_setvskip 0, 0                                            // 000000008114: BF108080
	s_setvskip s20, 1                                          // 000000008118: BF108114
	global_atomic_pk_add_bf16 v82, v67, s[8:9] offset:256      // 00000000811C: DD488100 00084352
	s_setvskip 0, 0                                            // 000000008124: BF108080
	s_setvskip s20, 2                                          // 000000008128: BF108214
	global_atomic_pk_add_bf16 v84, v68, s[8:9]                 // 00000000812C: DD488000 00084454
	s_setvskip 0, 0                                            // 000000008134: BF108080
	s_setvskip s20, 2                                          // 000000008138: BF108214
	global_atomic_pk_add_bf16 v84, v69, s[8:9] offset:256      // 00000000813C: DD488100 00084554
	s_setvskip 0, 0                                            // 000000008144: BF108080
	s_setvskip s20, 3                                          // 000000008148: BF108314
	global_atomic_pk_add_bf16 v86, v70, s[8:9]                 // 00000000814C: DD488000 00084656
	s_setvskip 0, 0                                            // 000000008154: BF108080
	s_setvskip s20, 3                                          // 000000008158: BF108314
	global_atomic_pk_add_bf16 v86, v71, s[8:9] offset:256      // 00000000815C: DD488100 00084756
	s_setvskip 0, 0                                            // 000000008164: BF108080
	s_setvskip s20, 4                                          // 000000008168: BF108414
	global_atomic_pk_add_bf16 v88, v72, s[8:9]                 // 00000000816C: DD488000 00084858
	s_setvskip 0, 0                                            // 000000008174: BF108080
	s_setvskip s20, 4                                          // 000000008178: BF108414
	global_atomic_pk_add_bf16 v88, v73, s[8:9] offset:256      // 00000000817C: DD488100 00084958
	s_setvskip 0, 0                                            // 000000008184: BF108080
	s_setvskip s20, 5                                          // 000000008188: BF108514
	global_atomic_pk_add_bf16 v90, v74, s[8:9]                 // 00000000818C: DD488000 00084A5A
	s_setvskip 0, 0                                            // 000000008194: BF108080
	s_setvskip s20, 5                                          // 000000008198: BF108514
	global_atomic_pk_add_bf16 v90, v75, s[8:9] offset:256      // 00000000819C: DD488100 00084B5A
	s_setvskip 0, 0                                            // 0000000081A4: BF108080
	s_setvskip s20, 6                                          // 0000000081A8: BF108614
	global_atomic_pk_add_bf16 v92, v76, s[8:9]                 // 0000000081AC: DD488000 00084C5C
	s_setvskip 0, 0                                            // 0000000081B4: BF108080
	s_setvskip s20, 6                                          // 0000000081B8: BF108614
	global_atomic_pk_add_bf16 v92, v77, s[8:9] offset:256      // 0000000081BC: DD488100 00084D5C
	s_setvskip 0, 0                                            // 0000000081C4: BF108080
	s_setvskip s20, 7                                          // 0000000081C8: BF108714
	global_atomic_pk_add_bf16 v94, v78, s[8:9]                 // 0000000081CC: DD488000 00084E5E
	s_setvskip 0, 0                                            // 0000000081D4: BF108080
	s_setvskip s20, 7                                          // 0000000081D8: BF108714
	global_atomic_pk_add_bf16 v94, v79, s[8:9] offset:256      // 0000000081DC: DD488100 00084F5E
	s_setvskip 0, 0                                            // 0000000081E4: BF108080
	s_add_u32 s8, s55, s8                                      // 0000000081E8: 80080837
	s_addc_u32 s9, 0, s9                                       // 0000000081EC: 82090980
	ds_write_b64 v4, v[192:193] offset:38400                   // 0000000081F0: D89A9600 0000C004
	ds_write_b64 v4, v[194:195] offset:47104                   // 0000000081F8: D89AB800 0000C204
	ds_write_b64 v4, v[196:197] offset:40576                   // 000000008200: D89A9E80 0000C404
	ds_write_b64 v4, v[198:199] offset:49280                   // 000000008208: D89AC080 0000C604
	ds_write_b64 v4, v[200:201] offset:42752                   // 000000008210: D89AA700 0000C804
	ds_write_b64 v4, v[202:203] offset:51456                   // 000000008218: D89AC900 0000CA04
	ds_write_b64 v4, v[204:205] offset:44928                   // 000000008220: D89AAF80 0000CC04
	ds_write_b64 v4, v[206:207] offset:53632                   // 000000008228: D89AD180 0000CE04
	s_waitcnt lgkmcnt(0)                                       // 000000008230: BF8CC07F
	s_barrier                                                  // 000000008234: BF8A0000
	ds_read_b32 v64, v6 offset:38400                           // 000000008238: D86C9600 40000006
	ds_read_b32 v65, v6 offset:42752                           // 000000008240: D86CA700 41000006
	ds_read_b32 v66, v6 offset:38408                           // 000000008248: D86C9608 42000006
	ds_read_b32 v67, v6 offset:42760                           // 000000008250: D86CA708 43000006
	ds_read_b32 v68, v6 offset:38432                           // 000000008258: D86C9620 44000006
	ds_read_b32 v69, v6 offset:42784                           // 000000008260: D86CA720 45000006
	ds_read_b32 v70, v6 offset:38440                           // 000000008268: D86C9628 46000006
	ds_read_b32 v71, v6 offset:42792                           // 000000008270: D86CA728 47000006
	ds_read_b32 v72, v6 offset:47104                           // 000000008278: D86CB800 48000006
	ds_read_b32 v73, v6 offset:51456                           // 000000008280: D86CC900 49000006
	ds_read_b32 v74, v6 offset:47112                           // 000000008288: D86CB808 4A000006
	ds_read_b32 v75, v6 offset:51464                           // 000000008290: D86CC908 4B000006
	ds_read_b32 v76, v6 offset:47136                           // 000000008298: D86CB820 4C000006
	ds_read_b32 v77, v6 offset:51488                           // 0000000082A0: D86CC920 4D000006
	ds_read_b32 v78, v6 offset:47144                           // 0000000082A8: D86CB828 4E000006
	ds_read_b32 v79, v6 offset:51496                           // 0000000082B0: D86CC928 4F000006
	s_waitcnt lgkmcnt(0)                                       // 0000000082B8: BF8CC07F
	s_setvskip s20, 0                                          // 0000000082BC: BF108014
	global_atomic_pk_add_bf16 v80, v64, s[8:9]                 // 0000000082C0: DD488000 00084050
	s_setvskip 0, 0                                            // 0000000082C8: BF108080
	s_setvskip s20, 0                                          // 0000000082CC: BF108014
	global_atomic_pk_add_bf16 v80, v65, s[8:9] offset:256      // 0000000082D0: DD488100 00084150
	s_setvskip 0, 0                                            // 0000000082D8: BF108080
	s_setvskip s20, 1                                          // 0000000082DC: BF108114
	global_atomic_pk_add_bf16 v82, v66, s[8:9]                 // 0000000082E0: DD488000 00084252
	s_setvskip 0, 0                                            // 0000000082E8: BF108080
	s_setvskip s20, 1                                          // 0000000082EC: BF108114
	global_atomic_pk_add_bf16 v82, v67, s[8:9] offset:256      // 0000000082F0: DD488100 00084352
	s_setvskip 0, 0                                            // 0000000082F8: BF108080
	s_setvskip s20, 2                                          // 0000000082FC: BF108214
	global_atomic_pk_add_bf16 v84, v68, s[8:9]                 // 000000008300: DD488000 00084454
	s_setvskip 0, 0                                            // 000000008308: BF108080
	s_setvskip s20, 2                                          // 00000000830C: BF108214
	global_atomic_pk_add_bf16 v84, v69, s[8:9] offset:256      // 000000008310: DD488100 00084554
	s_setvskip 0, 0                                            // 000000008318: BF108080
	s_setvskip s20, 3                                          // 00000000831C: BF108314
	global_atomic_pk_add_bf16 v86, v70, s[8:9]                 // 000000008320: DD488000 00084656
	s_setvskip 0, 0                                            // 000000008328: BF108080
	s_setvskip s20, 3                                          // 00000000832C: BF108314
	global_atomic_pk_add_bf16 v86, v71, s[8:9] offset:256      // 000000008330: DD488100 00084756
	s_setvskip 0, 0                                            // 000000008338: BF108080
	s_setvskip s20, 4                                          // 00000000833C: BF108414
	global_atomic_pk_add_bf16 v88, v72, s[8:9]                 // 000000008340: DD488000 00084858
	s_setvskip 0, 0                                            // 000000008348: BF108080
	s_setvskip s20, 4                                          // 00000000834C: BF108414
	global_atomic_pk_add_bf16 v88, v73, s[8:9] offset:256      // 000000008350: DD488100 00084958
	s_setvskip 0, 0                                            // 000000008358: BF108080
	s_setvskip s20, 5                                          // 00000000835C: BF108514
	global_atomic_pk_add_bf16 v90, v74, s[8:9]                 // 000000008360: DD488000 00084A5A
	s_setvskip 0, 0                                            // 000000008368: BF108080
	s_setvskip s20, 5                                          // 00000000836C: BF108514
	global_atomic_pk_add_bf16 v90, v75, s[8:9] offset:256      // 000000008370: DD488100 00084B5A
	s_setvskip 0, 0                                            // 000000008378: BF108080
	s_setvskip s20, 6                                          // 00000000837C: BF108614
	global_atomic_pk_add_bf16 v92, v76, s[8:9]                 // 000000008380: DD488000 00084C5C
	s_setvskip 0, 0                                            // 000000008388: BF108080
	s_setvskip s20, 6                                          // 00000000838C: BF108614
	global_atomic_pk_add_bf16 v92, v77, s[8:9] offset:256      // 000000008390: DD488100 00084D5C
	s_setvskip 0, 0                                            // 000000008398: BF108080
	s_setvskip s20, 7                                          // 00000000839C: BF108714
	global_atomic_pk_add_bf16 v94, v78, s[8:9]                 // 0000000083A0: DD488000 00084E5E
	s_setvskip 0, 0                                            // 0000000083A8: BF108080
	s_setvskip s20, 7                                          // 0000000083AC: BF108714
	global_atomic_pk_add_bf16 v94, v79, s[8:9] offset:256      // 0000000083B0: DD488100 00084F5E
	s_setvskip 0, 0                                            // 0000000083B8: BF108080

00000000000083bc <label_156F>:
	s_waitcnt vmcnt(0) expcnt(0) lgkmcnt(0)                    // 0000000083BC: BF8C0000
	s_endpgm                                                   // 0000000083C0: BF810000
